;; amdgpu-corpus repo=ROCm/rocFFT kind=compiled arch=gfx906 opt=O3
	.text
	.amdgcn_target "amdgcn-amd-amdhsa--gfx906"
	.amdhsa_code_object_version 6
	.protected	bluestein_single_fwd_len1800_dim1_half_op_CI_CI ; -- Begin function bluestein_single_fwd_len1800_dim1_half_op_CI_CI
	.globl	bluestein_single_fwd_len1800_dim1_half_op_CI_CI
	.p2align	8
	.type	bluestein_single_fwd_len1800_dim1_half_op_CI_CI,@function
bluestein_single_fwd_len1800_dim1_half_op_CI_CI: ; @bluestein_single_fwd_len1800_dim1_half_op_CI_CI
; %bb.0:
	s_load_dwordx4 s[0:3], s[4:5], 0x28
	v_mul_u32_u24_e32 v1, 0x16d, v0
	v_add_u32_sdwa v16, s6, v1 dst_sel:DWORD dst_unused:UNUSED_PAD src0_sel:DWORD src1_sel:WORD_1
	v_mov_b32_e32 v17, 0
	s_waitcnt lgkmcnt(0)
	v_cmp_gt_u64_e32 vcc, s[0:1], v[16:17]
	s_and_saveexec_b64 s[0:1], vcc
	s_cbranch_execz .LBB0_18
; %bb.1:
	s_load_dwordx4 s[8:11], s[4:5], 0x18
	s_load_dwordx4 s[12:15], s[4:5], 0x0
	s_movk_i32 s0, 0xb4
	v_mul_lo_u16_sdwa v1, v1, s0 dst_sel:DWORD dst_unused:UNUSED_PAD src0_sel:WORD_1 src1_sel:DWORD
	v_sub_u16_e32 v43, v0, v1
	s_waitcnt lgkmcnt(0)
	s_load_dwordx4 s[16:19], s[8:9], 0x0
	v_lshlrev_b32_e32 v34, 2, v43
	s_movk_i32 s6, 0x1000
	s_mov_b32 s7, 0xbb9c
	s_waitcnt lgkmcnt(0)
	v_mad_u64_u32 v[0:1], s[0:1], s18, v16, 0
	v_mad_u64_u32 v[2:3], s[0:1], s16, v43, 0
	;; [unrolled: 1-line block ×4, first 2 shown]
	v_mov_b32_e32 v1, v4
	v_lshlrev_b64 v[0:1], 2, v[0:1]
	v_mov_b32_e32 v6, s3
	v_mov_b32_e32 v3, v5
	v_add_co_u32_e32 v4, vcc, s2, v0
	v_addc_co_u32_e32 v5, vcc, v6, v1, vcc
	v_lshlrev_b64 v[0:1], 2, v[2:3]
	v_mov_b32_e32 v2, s13
	v_add_co_u32_e32 v0, vcc, v4, v0
	v_add_co_u32_e64 v45, s[2:3], s12, v34
	s_mul_i32 s0, s17, 0x2d0
	s_mul_hi_u32 s1, s16, 0x2d0
	v_addc_co_u32_e32 v1, vcc, v5, v1, vcc
	v_addc_co_u32_e64 v4, vcc, 0, v2, s[2:3]
	s_add_i32 s0, s1, s0
	s_mul_i32 s1, s16, 0x2d0
	v_mov_b32_e32 v3, s0
	v_add_co_u32_e32 v2, vcc, s1, v0
	v_addc_co_u32_e32 v3, vcc, v1, v3, vcc
	global_load_dword v5, v[0:1], off
	global_load_dword v6, v[2:3], off
	global_load_dword v44, v34, s[12:13]
	global_load_dword v42, v34, s[12:13] offset:720
	v_mov_b32_e32 v1, s0
	v_add_co_u32_e32 v0, vcc, s1, v2
	v_addc_co_u32_e32 v1, vcc, v3, v1, vcc
	v_mov_b32_e32 v3, s0
	v_add_co_u32_e32 v2, vcc, s1, v0
	v_addc_co_u32_e32 v3, vcc, v1, v3, vcc
	global_load_dword v7, v[0:1], off
	global_load_dword v8, v[2:3], off
	global_load_dword v41, v34, s[12:13] offset:1440
	global_load_dword v40, v34, s[12:13] offset:2160
	v_mov_b32_e32 v1, s0
	v_add_co_u32_e32 v0, vcc, s1, v2
	v_addc_co_u32_e32 v1, vcc, v3, v1, vcc
	global_load_dword v9, v[0:1], off
	v_mov_b32_e32 v2, s0
	v_add_co_u32_e32 v0, vcc, s1, v0
	v_addc_co_u32_e32 v1, vcc, v1, v2, vcc
	global_load_dword v10, v[0:1], off
	global_load_dword v39, v34, s[12:13] offset:2880
	global_load_dword v38, v34, s[12:13] offset:3600
	v_add_co_u32_e32 v0, vcc, s1, v0
	v_addc_co_u32_e32 v1, vcc, v1, v2, vcc
	v_add_co_u32_e32 v2, vcc, s6, v45
	global_load_dword v11, v[0:1], off
	v_addc_co_u32_e32 v3, vcc, 0, v4, vcc
	global_load_dword v37, v[2:3], off offset:224
	v_mov_b32_e32 v4, s0
	v_add_co_u32_e32 v0, vcc, s1, v0
	v_addc_co_u32_e32 v1, vcc, v1, v4, vcc
	global_load_dword v4, v[0:1], off
	global_load_dword v36, v[2:3], off offset:944
	v_mov_b32_e32 v12, s0
	v_add_co_u32_e32 v0, vcc, s1, v0
	v_addc_co_u32_e32 v1, vcc, v1, v12, vcc
	global_load_dword v12, v[0:1], off
	;; [unrolled: 5-line block ×3, first 2 shown]
	global_load_dword v33, v[2:3], off offset:2384
	s_load_dwordx4 s[8:11], s[10:11], 0x0
	s_movk_i32 s0, 0x3b9c
	s_movk_i32 s1, 0x38b4
	s_mov_b32 s12, 0xb8b4
	s_movk_i32 s6, 0x34f2
	s_waitcnt vmcnt(19)
	v_lshrrev_b32_e32 v0, 16, v5
	s_waitcnt vmcnt(17)
	v_mul_f16_sdwa v1, v44, v0 dst_sel:DWORD dst_unused:UNUSED_PAD src0_sel:WORD_1 src1_sel:DWORD
	v_mul_f16_sdwa v2, v44, v5 dst_sel:DWORD dst_unused:UNUSED_PAD src0_sel:WORD_1 src1_sel:DWORD
	v_fma_f16 v1, v44, v5, v1
	v_fma_f16 v0, v44, v0, -v2
	v_pack_b32_f16 v0, v1, v0
	v_lshrrev_b32_e32 v1, 16, v6
	s_waitcnt vmcnt(16)
	v_mul_f16_sdwa v2, v42, v1 dst_sel:DWORD dst_unused:UNUSED_PAD src0_sel:WORD_1 src1_sel:DWORD
	v_mul_f16_sdwa v3, v42, v6 dst_sel:DWORD dst_unused:UNUSED_PAD src0_sel:WORD_1 src1_sel:DWORD
	v_fma_f16 v2, v42, v6, v2
	v_fma_f16 v1, v42, v1, -v3
	v_pack_b32_f16 v1, v2, v1
	ds_write2_b32 v34, v0, v1 offset1:180
	s_waitcnt vmcnt(15)
	v_lshrrev_b32_e32 v0, 16, v7
	s_waitcnt vmcnt(13)
	v_mul_f16_sdwa v1, v41, v0 dst_sel:DWORD dst_unused:UNUSED_PAD src0_sel:WORD_1 src1_sel:DWORD
	v_mul_f16_sdwa v2, v41, v7 dst_sel:DWORD dst_unused:UNUSED_PAD src0_sel:WORD_1 src1_sel:DWORD
	v_fma_f16 v1, v41, v7, v1
	v_fma_f16 v0, v41, v0, -v2
	v_pack_b32_f16 v0, v1, v0
	v_lshrrev_b32_e32 v1, 16, v8
	s_waitcnt vmcnt(12)
	v_mul_f16_sdwa v2, v40, v1 dst_sel:DWORD dst_unused:UNUSED_PAD src0_sel:WORD_1 src1_sel:DWORD
	v_mul_f16_sdwa v3, v40, v8 dst_sel:DWORD dst_unused:UNUSED_PAD src0_sel:WORD_1 src1_sel:DWORD
	v_fma_f16 v2, v40, v8, v2
	v_fma_f16 v1, v40, v1, -v3
	v_pack_b32_f16 v1, v2, v1
	v_add_u32_e32 v5, 0x500, v34
	ds_write2_b32 v5, v0, v1 offset0:40 offset1:220
	s_waitcnt vmcnt(11)
	v_lshrrev_b32_e32 v0, 16, v9
	s_waitcnt vmcnt(9)
	v_mul_f16_sdwa v1, v39, v0 dst_sel:DWORD dst_unused:UNUSED_PAD src0_sel:WORD_1 src1_sel:DWORD
	v_mul_f16_sdwa v2, v39, v9 dst_sel:DWORD dst_unused:UNUSED_PAD src0_sel:WORD_1 src1_sel:DWORD
	v_fma_f16 v1, v39, v9, v1
	v_fma_f16 v0, v39, v0, -v2
	v_pack_b32_f16 v0, v1, v0
	v_lshrrev_b32_e32 v1, 16, v10
	s_waitcnt vmcnt(8)
	v_mul_f16_sdwa v2, v38, v1 dst_sel:DWORD dst_unused:UNUSED_PAD src0_sel:WORD_1 src1_sel:DWORD
	v_mul_f16_sdwa v3, v38, v10 dst_sel:DWORD dst_unused:UNUSED_PAD src0_sel:WORD_1 src1_sel:DWORD
	v_fma_f16 v2, v38, v10, v2
	v_fma_f16 v1, v38, v1, -v3
	v_pack_b32_f16 v1, v2, v1
	v_add_u32_e32 v2, 0xb00, v34
	ds_write2_b32 v2, v0, v1 offset0:16 offset1:196
	s_waitcnt vmcnt(7)
	v_lshrrev_b32_e32 v0, 16, v11
	s_waitcnt vmcnt(6)
	v_mul_f16_sdwa v1, v37, v0 dst_sel:DWORD dst_unused:UNUSED_PAD src0_sel:WORD_1 src1_sel:DWORD
	v_mul_f16_sdwa v3, v37, v11 dst_sel:DWORD dst_unused:UNUSED_PAD src0_sel:WORD_1 src1_sel:DWORD
	v_fma_f16 v1, v37, v11, v1
	v_fma_f16 v0, v37, v0, -v3
	v_pack_b32_f16 v0, v1, v0
	s_waitcnt vmcnt(5)
	v_lshrrev_b32_e32 v1, 16, v4
	s_waitcnt vmcnt(4)
	v_mul_f16_sdwa v3, v36, v1 dst_sel:DWORD dst_unused:UNUSED_PAD src0_sel:WORD_1 src1_sel:DWORD
	v_fma_f16 v3, v36, v4, v3
	v_mul_f16_sdwa v4, v36, v4 dst_sel:DWORD dst_unused:UNUSED_PAD src0_sel:WORD_1 src1_sel:DWORD
	v_fma_f16 v1, v36, v1, -v4
	v_pack_b32_f16 v1, v3, v1
	v_add_u32_e32 v3, 0x1000, v34
	ds_write2_b32 v3, v0, v1 offset0:56 offset1:236
	s_waitcnt vmcnt(3)
	v_lshrrev_b32_e32 v0, 16, v12
	s_waitcnt vmcnt(2)
	v_mul_f16_sdwa v1, v35, v0 dst_sel:DWORD dst_unused:UNUSED_PAD src0_sel:WORD_1 src1_sel:DWORD
	v_mul_f16_sdwa v4, v35, v12 dst_sel:DWORD dst_unused:UNUSED_PAD src0_sel:WORD_1 src1_sel:DWORD
	v_fma_f16 v1, v35, v12, v1
	v_fma_f16 v0, v35, v0, -v4
	v_pack_b32_f16 v0, v1, v0
	s_waitcnt vmcnt(1)
	v_lshrrev_b32_e32 v1, 16, v13
	s_waitcnt vmcnt(0)
	v_mul_f16_sdwa v4, v33, v1 dst_sel:DWORD dst_unused:UNUSED_PAD src0_sel:WORD_1 src1_sel:DWORD
	v_mul_f16_sdwa v6, v33, v13 dst_sel:DWORD dst_unused:UNUSED_PAD src0_sel:WORD_1 src1_sel:DWORD
	v_fma_f16 v4, v33, v13, v4
	v_fma_f16 v1, v33, v1, -v6
	v_pack_b32_f16 v1, v4, v1
	v_add_u32_e32 v8, 0x1600, v34
	ds_write2_b32 v8, v0, v1 offset0:32 offset1:212
	s_waitcnt lgkmcnt(0)
	s_barrier
	ds_read2_b32 v[0:1], v2 offset0:16 offset1:196
	ds_read2_b32 v[2:3], v3 offset0:56 offset1:236
	;; [unrolled: 1-line block ×3, first 2 shown]
	ds_read2_b32 v[6:7], v34 offset1:180
	s_waitcnt lgkmcnt(2)
	v_add_f16_e32 v10, v0, v2
	v_sub_f16_sdwa v11, v0, v2 dst_sel:DWORD dst_unused:UNUSED_PAD src0_sel:WORD_1 src1_sel:WORD_1
	s_waitcnt lgkmcnt(0)
	v_pk_add_f16 v9, v6, v4
	v_pk_add_f16 v14, v9, v0
	;; [unrolled: 1-line block ×4, first 2 shown]
	ds_read2_b32 v[8:9], v8 offset0:32 offset1:212
	v_pk_add_f16 v18, v18, v3
	v_sub_f16_e32 v12, v4, v0
	v_sub_f16_e32 v13, v0, v4
	v_add_f16_sdwa v15, v0, v2 dst_sel:DWORD dst_unused:UNUSED_PAD src0_sel:WORD_1 src1_sel:WORD_1
	s_waitcnt lgkmcnt(0)
	v_add_f16_e32 v28, v4, v8
	v_sub_f16_e32 v17, v0, v2
	v_sub_f16_sdwa v19, v4, v0 dst_sel:DWORD dst_unused:UNUSED_PAD src0_sel:WORD_1 src1_sel:WORD_1
	v_sub_f16_sdwa v0, v0, v4 dst_sel:DWORD dst_unused:UNUSED_PAD src0_sel:WORD_1 src1_sel:WORD_1
	v_add_f16_e32 v20, v1, v3
	v_sub_f16_sdwa v21, v1, v3 dst_sel:DWORD dst_unused:UNUSED_PAD src0_sel:WORD_1 src1_sel:WORD_1
	v_sub_f16_e32 v22, v5, v1
	v_sub_f16_e32 v23, v1, v5
	v_add_f16_sdwa v24, v1, v3 dst_sel:DWORD dst_unused:UNUSED_PAD src0_sel:WORD_1 src1_sel:WORD_1
	v_sub_f16_e32 v25, v1, v3
	v_sub_f16_sdwa v26, v5, v1 dst_sel:DWORD dst_unused:UNUSED_PAD src0_sel:WORD_1 src1_sel:WORD_1
	v_sub_f16_sdwa v1, v1, v5 dst_sel:DWORD dst_unused:UNUSED_PAD src0_sel:WORD_1 src1_sel:WORD_1
	v_sub_f16_sdwa v30, v5, v9 dst_sel:DWORD dst_unused:UNUSED_PAD src0_sel:WORD_1 src1_sel:WORD_1
	v_add_f16_e32 v31, v5, v9
	v_sub_f16_e32 v32, v5, v9
	v_add_f16_sdwa v5, v5, v9 dst_sel:DWORD dst_unused:UNUSED_PAD src0_sel:WORD_1 src1_sel:WORD_1
	v_pk_add_f16 v14, v14, v2
	v_sub_f16_e32 v46, v8, v2
	v_sub_f16_e32 v47, v2, v8
	v_sub_f16_sdwa v48, v8, v2 dst_sel:DWORD dst_unused:UNUSED_PAD src0_sel:WORD_1 src1_sel:WORD_1
	v_sub_f16_sdwa v2, v2, v8 dst_sel:DWORD dst_unused:UNUSED_PAD src0_sel:WORD_1 src1_sel:WORD_1
	v_sub_f16_e32 v49, v9, v3
	v_sub_f16_e32 v50, v3, v9
	v_sub_f16_sdwa v51, v9, v3 dst_sel:DWORD dst_unused:UNUSED_PAD src0_sel:WORD_1 src1_sel:WORD_1
	v_sub_f16_sdwa v3, v3, v9 dst_sel:DWORD dst_unused:UNUSED_PAD src0_sel:WORD_1 src1_sel:WORD_1
	v_pk_add_f16 v18, v18, v9
	v_fma_f16 v9, v28, -0.5, v6
	v_sub_f16_sdwa v27, v4, v8 dst_sel:DWORD dst_unused:UNUSED_PAD src0_sel:WORD_1 src1_sel:WORD_1
	v_sub_f16_e32 v29, v4, v8
	v_add_f16_sdwa v4, v4, v8 dst_sel:DWORD dst_unused:UNUSED_PAD src0_sel:WORD_1 src1_sel:WORD_1
	v_pk_add_f16 v14, v14, v8
	v_add_f16_e32 v8, v13, v47
	v_fma_f16 v13, v11, s7, v9
	v_fma_f16 v9, v11, s0, v9
	v_add_f16_e32 v0, v0, v2
	v_lshrrev_b32_e32 v2, 16, v6
	v_fma_f16 v13, v27, s1, v13
	v_fma_f16 v9, v27, s12, v9
	v_fma_f16 v4, v4, -0.5, v2
	v_fma_f16 v13, v8, s6, v13
	v_fma_f16 v9, v8, s6, v9
	;; [unrolled: 1-line block ×7, first 2 shown]
	v_fma_f16 v8, v31, -0.5, v7
	v_fma_f16 v4, v0, s6, v4
	v_add_f16_e32 v0, v23, v50
	v_fma_f16 v23, v21, s7, v8
	v_fma_f16 v8, v21, s0, v8
	;; [unrolled: 1-line block ×6, first 2 shown]
	v_fma_f16 v8, v20, -0.5, v7
	v_lshrrev_b32_e32 v7, 16, v7
	v_add_f16_e32 v1, v1, v3
	v_fma_f16 v3, v5, -0.5, v7
	v_fma_f16 v5, v25, s0, v3
	v_fma_f16 v5, v32, s12, v5
	;; [unrolled: 1-line block ×3, first 2 shown]
	v_fma_f16 v6, v10, -0.5, v6
	v_fma_f16 v5, v1, s6, v5
	v_fma_f16 v3, v32, s1, v3
	v_mul_f16_e32 v10, 0xbb9c, v23
	v_fma_f16 v1, v1, s6, v3
	v_mul_f16_e32 v3, 0x3b9c, v5
	v_fma_f16 v5, v5, s6, v10
	v_mul_f16_e32 v10, 0x34f2, v0
	v_fma_f16 v10, v1, s0, -v10
	v_mul_f16_e32 v1, 0x34f2, v1
	v_fma_f16 v20, v0, s7, -v1
	v_fma_f16 v3, v23, s6, v3
	v_add_f16_e32 v0, v9, v10
	v_add_f16_e32 v1, v4, v20
	v_pack_b32_f16 v1, v0, v1
	v_add_f16_e32 v0, v13, v3
	v_add_f16_e32 v23, v28, v5
	v_pack_b32_f16 v0, v0, v23
	v_fma_f16 v23, v27, s0, v6
	v_fma_f16 v6, v27, s7, v6
	v_fma_f16 v2, v15, -0.5, v2
	v_add_f16_e32 v12, v12, v46
	v_fma_f16 v23, v11, s1, v23
	v_fma_f16 v6, v11, s12, v6
	;; [unrolled: 1-line block ×6, first 2 shown]
	v_add_f16_e32 v12, v19, v48
	v_fma_f16 v15, v17, s12, v15
	v_fma_f16 v2, v17, s1, v2
	v_fma_f16 v17, v30, s0, v8
	v_fma_f16 v8, v30, s7, v8
	v_fma_f16 v7, v24, -0.5, v7
	v_fma_f16 v15, v12, s6, v15
	v_fma_f16 v2, v12, s6, v2
	v_add_f16_e32 v12, v22, v49
	v_fma_f16 v17, v21, s1, v17
	v_fma_f16 v8, v21, s12, v8
	;; [unrolled: 1-line block ×6, first 2 shown]
	v_add_f16_e32 v12, v26, v51
	v_fma_f16 v19, v25, s12, v19
	v_fma_f16 v7, v25, s1, v7
	;; [unrolled: 1-line block ×4, first 2 shown]
	s_movk_i32 s0, 0x3a79
	v_mul_f16_e32 v12, 0x3a79, v17
	v_mul_f16_e32 v17, 0xb8b4, v17
	v_fma_f16 v12, v19, s1, v12
	v_fma_f16 v17, v19, s0, v17
	v_mul_f16_e32 v19, 0x3a79, v8
	v_fma_f16 v19, v7, s1, -v19
	v_mul_f16_e32 v7, 0x3a79, v7
	v_fma_f16 v7, v8, s12, -v7
	v_add_f16_e32 v24, v11, v12
	v_sub_f16_e32 v8, v11, v12
	v_sub_f16_e32 v11, v13, v3
	v_add_f16_e32 v3, v15, v17
	v_sub_f16_e32 v22, v4, v20
	v_add_f16_e32 v4, v2, v7
	v_sub_f16_e32 v23, v2, v7
	v_mul_lo_u16_e32 v2, 10, v43
	v_sub_f16_e32 v12, v9, v10
	v_add_f16_e32 v10, v6, v19
	v_sub_f16_e32 v9, v15, v17
	v_sub_f16_e32 v21, v28, v5
	v_lshlrev_b32_e32 v46, 2, v2
	v_pack_b32_f16 v3, v24, v3
	v_pk_add_f16 v2, v14, v18
	v_sub_f16_e32 v13, v6, v19
	s_barrier
	ds_write2_b64 v46, v[2:3], v[0:1] offset1:1
	v_pk_add_f16 v1, v14, v18 neg_lo:[0,1] neg_hi:[0,1]
	v_pack_b32_f16 v2, v8, v9
	v_pack_b32_f16 v3, v11, v21
	;; [unrolled: 1-line block ×3, first 2 shown]
	ds_write2_b64 v46, v[0:1], v[2:3] offset0:2 offset1:3
	v_pack_b32_f16 v1, v13, v23
	v_pack_b32_f16 v0, v12, v22
	ds_write_b64 v46, v[0:1] offset:32
	s_waitcnt lgkmcnt(0)
	s_barrier
	ds_read_b32 v10, v34
	ds_read_b32 v20, v34 offset:1200
	ds_read_b32 v19, v34 offset:2400
	;; [unrolled: 1-line block ×5, first 2 shown]
	s_load_dwordx2 s[6:7], s[4:5], 0x38
	s_movk_i32 s0, 0x78
	v_cmp_gt_u16_e64 s[0:1], s0, v43
                                        ; implicit-def: $vgpr24
                                        ; implicit-def: $vgpr26
                                        ; implicit-def: $vgpr25
                                        ; implicit-def: $vgpr27
	s_and_saveexec_b64 s[4:5], s[0:1]
	s_cbranch_execz .LBB0_3
; %bb.2:
	ds_read_b32 v8, v34 offset:720
	ds_read_b32 v11, v34 offset:1920
	;; [unrolled: 1-line block ×6, first 2 shown]
	s_waitcnt lgkmcnt(0)
	v_lshrrev_b32_e32 v9, 16, v8
	v_lshrrev_b32_e32 v21, 16, v11
	;; [unrolled: 1-line block ×6, first 2 shown]
.LBB0_3:
	s_or_b64 exec, exec, s[4:5]
	v_add_co_u32_e32 v17, vcc, 0xb4, v43
	s_mov_b32 s4, 0xcccd
	v_mul_u32_u24_sdwa v0, v17, s4 dst_sel:DWORD dst_unused:UNUSED_PAD src0_sel:WORD_0 src1_sel:DWORD
	v_lshrrev_b32_e32 v30, 19, v0
	v_mul_lo_u16_e32 v0, 10, v30
	v_sub_u16_e32 v31, v17, v0
	v_mul_lo_u16_e32 v0, 20, v31
	v_mov_b32_e32 v1, s15
	v_add_co_u32_e32 v4, vcc, s14, v0
	v_addc_co_u32_e32 v5, vcc, 0, v1, vcc
	s_movk_i32 s4, 0xcd
	global_load_dwordx4 v[0:3], v[4:5], off
	global_load_dword v47, v[4:5], off offset:16
	v_mul_lo_u16_sdwa v4, v43, s4 dst_sel:DWORD dst_unused:UNUSED_PAD src0_sel:BYTE_0 src1_sel:DWORD
	v_lshrrev_b16_e32 v32, 11, v4
	v_mul_lo_u16_e32 v4, 10, v32
	v_sub_u16_e32 v4, v43, v4
	v_and_b32_e32 v49, 0xff, v4
	v_mad_u64_u32 v[28:29], s[4:5], v49, 20, s[14:15]
	global_load_dwordx4 v[4:7], v[28:29], off
	global_load_dword v48, v[28:29], off offset:16
	s_waitcnt lgkmcnt(0)
	v_lshrrev_b32_e32 v51, 16, v20
	v_lshrrev_b32_e32 v53, 16, v18
	;; [unrolled: 1-line block ×6, first 2 shown]
	s_movk_i32 s4, 0x3aee
	s_mov_b32 s5, 0xbaee
	v_mul_u32_u24_e32 v32, 60, v32
	s_waitcnt vmcnt(0)
	s_barrier
	v_mul_f16_sdwa v28, v21, v0 dst_sel:DWORD dst_unused:UNUSED_PAD src0_sel:DWORD src1_sel:WORD_1
	v_mul_f16_sdwa v29, v11, v0 dst_sel:DWORD dst_unused:UNUSED_PAD src0_sel:DWORD src1_sel:WORD_1
	v_mul_f16_sdwa v57, v12, v1 dst_sel:DWORD dst_unused:UNUSED_PAD src0_sel:DWORD src1_sel:WORD_1
	v_mul_f16_sdwa v58, v23, v2 dst_sel:DWORD dst_unused:UNUSED_PAD src0_sel:DWORD src1_sel:WORD_1
	v_mul_f16_sdwa v59, v13, v2 dst_sel:DWORD dst_unused:UNUSED_PAD src0_sel:DWORD src1_sel:WORD_1
	v_mul_f16_sdwa v60, v26, v3 dst_sel:DWORD dst_unused:UNUSED_PAD src0_sel:DWORD src1_sel:WORD_1
	v_mul_f16_sdwa v61, v24, v3 dst_sel:DWORD dst_unused:UNUSED_PAD src0_sel:DWORD src1_sel:WORD_1
	v_mul_f16_sdwa v62, v27, v47 dst_sel:DWORD dst_unused:UNUSED_PAD src0_sel:DWORD src1_sel:WORD_1
	v_mul_f16_sdwa v63, v25, v47 dst_sel:DWORD dst_unused:UNUSED_PAD src0_sel:DWORD src1_sel:WORD_1
	v_mul_f16_sdwa v56, v22, v1 dst_sel:DWORD dst_unused:UNUSED_PAD src0_sel:DWORD src1_sel:WORD_1
	v_fma_f16 v11, v11, v0, -v28
	v_fma_f16 v21, v21, v0, v29
	v_fma_f16 v28, v22, v1, v57
	v_fma_f16 v13, v13, v2, -v58
	v_fma_f16 v29, v23, v2, v59
	v_fma_f16 v22, v24, v3, -v60
	;; [unrolled: 2-line block ×3, first 2 shown]
	v_fma_f16 v25, v27, v47, v63
	v_mul_f16_sdwa v26, v51, v4 dst_sel:DWORD dst_unused:UNUSED_PAD src0_sel:DWORD src1_sel:WORD_1
	v_mul_f16_sdwa v27, v20, v4 dst_sel:DWORD dst_unused:UNUSED_PAD src0_sel:DWORD src1_sel:WORD_1
	;; [unrolled: 1-line block ×6, first 2 shown]
	v_fma_f16 v12, v12, v1, -v56
	v_mul_f16_sdwa v56, v52, v5 dst_sel:DWORD dst_unused:UNUSED_PAD src0_sel:DWORD src1_sel:WORD_1
	v_mul_f16_sdwa v59, v18, v6 dst_sel:DWORD dst_unused:UNUSED_PAD src0_sel:DWORD src1_sel:WORD_1
	;; [unrolled: 1-line block ×4, first 2 shown]
	v_fma_f16 v20, v20, v4, -v26
	v_fma_f16 v26, v51, v4, v27
	v_fma_f16 v27, v52, v5, v57
	v_fma_f16 v18, v18, v6, -v58
	v_fma_f16 v52, v54, v7, v61
	v_fma_f16 v14, v14, v48, -v62
	v_fma_f16 v19, v19, v5, -v56
	v_fma_f16 v51, v53, v6, v59
	v_fma_f16 v15, v15, v7, -v60
	v_fma_f16 v53, v55, v48, v63
	v_sub_f16_e32 v56, v27, v52
	v_add_f16_e32 v57, v50, v27
	v_add_f16_e32 v27, v27, v52
	v_add_f16_e32 v59, v18, v14
	v_add_f16_e32 v54, v10, v19
	v_add_f16_e32 v55, v19, v15
	v_sub_f16_e32 v19, v19, v15
	v_add_f16_e32 v58, v20, v18
	v_sub_f16_e32 v60, v51, v53
	v_add_f16_e32 v61, v26, v51
	v_fma_f16 v27, v27, -0.5, v50
	v_fma_f16 v20, v59, -0.5, v20
	v_add_f16_e32 v51, v51, v53
	v_fma_f16 v10, v55, -0.5, v10
	v_add_f16_e32 v50, v58, v14
	v_fma_f16 v55, v19, s5, v27
	v_fma_f16 v19, v19, s4, v27
	;; [unrolled: 1-line block ×4, first 2 shown]
	v_fma_f16 v26, v51, -0.5, v26
	v_sub_f16_e32 v14, v18, v14
	v_add_f16_e32 v15, v54, v15
	v_fma_f16 v54, v56, s4, v10
	v_fma_f16 v10, v56, s5, v10
	v_add_f16_e32 v56, v61, v53
	v_fma_f16 v18, v14, s5, v26
	v_fma_f16 v14, v14, s4, v26
	v_mul_f16_e32 v53, -0.5, v20
	v_fma_f16 v53, v14, s4, v53
	v_mul_f16_e32 v14, -0.5, v14
	v_mul_f16_e32 v26, 0x3aee, v18
	v_add_f16_e32 v58, v10, v53
	v_fma_f16 v14, v20, s5, v14
	v_sub_f16_e32 v64, v10, v53
	v_add_f16_e32 v10, v12, v22
	v_add_f16_e32 v51, v15, v50
	v_fma_f16 v26, v27, 0.5, v26
	v_mul_f16_e32 v27, 0xbaee, v27
	v_add_f16_e32 v61, v19, v14
	v_sub_f16_e32 v62, v15, v50
	v_sub_f16_e32 v66, v19, v14
	v_fma_f16 v14, v10, -0.5, v8
	v_sub_f16_e32 v15, v28, v24
	v_fma_f16 v18, v18, 0.5, v27
	v_fma_f16 v10, v15, s4, v14
	v_fma_f16 v14, v15, s5, v14
	v_add_f16_e32 v15, v28, v24
	v_add_f16_e32 v60, v55, v18
	v_sub_f16_e32 v65, v55, v18
	v_fma_f16 v18, v15, -0.5, v9
	v_sub_f16_e32 v19, v12, v22
	v_fma_f16 v15, v19, s5, v18
	v_fma_f16 v18, v19, s4, v18
	v_add_f16_e32 v19, v13, v23
	v_fma_f16 v19, v19, -0.5, v11
	v_sub_f16_e32 v20, v29, v25
	v_add_f16_e32 v52, v57, v52
	v_add_f16_e32 v57, v54, v26
	v_sub_f16_e32 v63, v54, v26
	v_fma_f16 v26, v20, s4, v19
	v_fma_f16 v27, v20, s5, v19
	v_add_f16_e32 v19, v29, v25
	v_fma_f16 v19, v19, -0.5, v21
	v_sub_f16_e32 v20, v13, v23
	v_fma_f16 v50, v20, s5, v19
	v_fma_f16 v53, v20, s4, v19
	v_mul_f16_e32 v19, 0x3aee, v50
	v_fma_f16 v19, v26, 0.5, v19
	v_mul_f16_e32 v26, 0xbaee, v26
	v_add_f16_e32 v59, v52, v56
	v_fma_f16 v26, v50, 0.5, v26
	v_mul_f16_e32 v50, -0.5, v53
	v_sub_f16_e32 v52, v52, v56
	v_mul_f16_e32 v20, -0.5, v27
	v_fma_f16 v27, v27, s5, v50
	v_add_lshl_u32 v50, v32, v49, 2
	v_pack_b32_f16 v32, v51, v59
	v_pack_b32_f16 v49, v57, v60
	ds_write2_b32 v50, v32, v49 offset1:10
	v_pack_b32_f16 v32, v58, v61
	v_pack_b32_f16 v49, v62, v52
	v_fma_f16 v20, v53, s4, v20
	ds_write2_b32 v50, v32, v49 offset0:20 offset1:30
	v_pack_b32_f16 v32, v63, v65
	v_pack_b32_f16 v49, v64, v66
	v_sub_f16_e32 v53, v10, v19
	v_sub_f16_e32 v54, v14, v20
	;; [unrolled: 1-line block ×4, first 2 shown]
	ds_write2_b32 v50, v32, v49 offset0:40 offset1:50
	v_mad_legacy_u16 v49, v30, 60, v31
	s_and_saveexec_b64 s[4:5], s[0:1]
	s_cbranch_execz .LBB0_5
; %bb.4:
	v_add_f16_e32 v9, v9, v28
	v_add_f16_e32 v21, v21, v29
	;; [unrolled: 1-line block ×8, first 2 shown]
	v_sub_f16_e32 v24, v9, v21
	v_sub_f16_e32 v12, v8, v11
	v_add_f16_e32 v15, v15, v26
	v_add_f16_e32 v9, v9, v21
	v_add_f16_e32 v10, v10, v19
	v_add_f16_e32 v8, v8, v11
	v_add_f16_e32 v13, v18, v27
	v_add_f16_e32 v14, v14, v20
	v_lshlrev_b32_e32 v11, 2, v49
	v_pack_b32_f16 v8, v8, v9
	v_pack_b32_f16 v9, v10, v15
	ds_write2_b32 v11, v8, v9 offset1:10
	v_pack_b32_f16 v8, v14, v13
	v_pack_b32_f16 v9, v12, v24
	s_mov_b32 s12, 0x5040100
	ds_write2_b32 v11, v8, v9 offset0:20 offset1:30
	v_perm_b32 v8, v55, v53, s12
	v_perm_b32 v9, v56, v54, s12
	ds_write2_b32 v11, v8, v9 offset0:40 offset1:50
.LBB0_5:
	s_or_b64 exec, exec, s[4:5]
	s_movk_i32 s4, 0x89
	v_mul_lo_u16_sdwa v8, v43, s4 dst_sel:DWORD dst_unused:UNUSED_PAD src0_sel:BYTE_0 src1_sel:DWORD
	v_lshrrev_b16_e32 v28, 13, v8
	v_mul_lo_u16_e32 v8, 60, v28
	v_sub_u16_e32 v8, v43, v8
	v_and_b32_e32 v29, 0xff, v8
	v_mad_u64_u32 v[18:19], s[4:5], v29, 36, s[14:15]
	s_waitcnt lgkmcnt(0)
	s_barrier
	global_load_dwordx4 v[8:11], v[18:19], off offset:200
	global_load_dwordx4 v[12:15], v[18:19], off offset:216
	global_load_dword v51, v[18:19], off offset:232
	v_add_u32_e32 v20, 0x500, v34
	v_add_u32_e32 v22, 0xb00, v34
	;; [unrolled: 1-line block ×4, first 2 shown]
	ds_read2_b32 v[18:19], v34 offset1:180
	ds_read2_b32 v[20:21], v20 offset0:40 offset1:220
	ds_read2_b32 v[22:23], v22 offset0:16 offset1:196
	;; [unrolled: 1-line block ×4, first 2 shown]
	s_movk_i32 s4, 0x3b9c
	s_waitcnt lgkmcnt(3)
	v_lshrrev_b32_e32 v32, 16, v20
	s_waitcnt lgkmcnt(2)
	v_lshrrev_b32_e32 v57, 16, v22
	;; [unrolled: 2-line block ×4, first 2 shown]
	v_lshrrev_b32_e32 v31, 16, v19
	v_lshrrev_b32_e32 v52, 16, v21
	s_mov_b32 s16, 0xbb9c
	s_movk_i32 s5, 0x38b4
	s_mov_b32 s17, 0xb8b4
	v_lshrrev_b32_e32 v30, 16, v18
	v_lshrrev_b32_e32 v58, 16, v23
	s_movk_i32 s12, 0x34f2
	v_lshrrev_b32_e32 v60, 16, v25
	v_lshrrev_b32_e32 v62, 16, v27
	s_movk_i32 s18, 0x3a79
	s_waitcnt vmcnt(0)
	s_barrier
	v_mul_f16_sdwa v69, v57, v11 dst_sel:DWORD dst_unused:UNUSED_PAD src0_sel:DWORD src1_sel:WORD_1
	v_mul_f16_sdwa v73, v59, v13 dst_sel:DWORD dst_unused:UNUSED_PAD src0_sel:DWORD src1_sel:WORD_1
	v_mul_f16_sdwa v64, v19, v8 dst_sel:DWORD dst_unused:UNUSED_PAD src0_sel:DWORD src1_sel:WORD_1
	v_mul_f16_sdwa v65, v32, v9 dst_sel:DWORD dst_unused:UNUSED_PAD src0_sel:DWORD src1_sel:WORD_1
	v_mul_f16_sdwa v66, v20, v9 dst_sel:DWORD dst_unused:UNUSED_PAD src0_sel:DWORD src1_sel:WORD_1
	v_mul_f16_sdwa v70, v22, v11 dst_sel:DWORD dst_unused:UNUSED_PAD src0_sel:DWORD src1_sel:WORD_1
	v_mul_f16_sdwa v74, v24, v13 dst_sel:DWORD dst_unused:UNUSED_PAD src0_sel:DWORD src1_sel:WORD_1
	v_mul_f16_sdwa v77, v61, v15 dst_sel:DWORD dst_unused:UNUSED_PAD src0_sel:DWORD src1_sel:WORD_1
	v_mul_f16_sdwa v78, v26, v15 dst_sel:DWORD dst_unused:UNUSED_PAD src0_sel:DWORD src1_sel:WORD_1
	v_fma_f16 v22, v22, v11, -v69
	v_fma_f16 v24, v24, v13, -v73
	v_mul_f16_sdwa v63, v31, v8 dst_sel:DWORD dst_unused:UNUSED_PAD src0_sel:DWORD src1_sel:WORD_1
	v_mul_f16_sdwa v67, v52, v10 dst_sel:DWORD dst_unused:UNUSED_PAD src0_sel:DWORD src1_sel:WORD_1
	;; [unrolled: 1-line block ×3, first 2 shown]
	v_fma_f16 v31, v31, v8, v64
	v_fma_f16 v20, v20, v9, -v65
	v_fma_f16 v32, v32, v9, v66
	v_fma_f16 v26, v26, v15, -v77
	v_fma_f16 v61, v61, v15, v78
	v_add_f16_e32 v64, v22, v24
	v_fma_f16 v21, v21, v10, -v67
	v_fma_f16 v52, v52, v10, v68
	v_fma_f16 v57, v57, v11, v70
	;; [unrolled: 1-line block ×3, first 2 shown]
	v_sub_f16_e32 v65, v32, v61
	v_sub_f16_e32 v67, v20, v22
	;; [unrolled: 1-line block ×3, first 2 shown]
	v_add_f16_e32 v69, v20, v26
	v_fma_f16 v64, v64, -0.5, v18
	v_fma_f16 v19, v19, v8, -v63
	v_add_f16_e32 v63, v18, v20
	v_sub_f16_e32 v66, v57, v59
	v_add_f16_e32 v67, v67, v68
	v_fma_f16 v18, v69, -0.5, v18
	v_fma_f16 v68, v65, s4, v64
	v_fma_f16 v64, v65, s16, v64
	v_mul_f16_sdwa v71, v58, v12 dst_sel:DWORD dst_unused:UNUSED_PAD src0_sel:DWORD src1_sel:WORD_1
	v_add_f16_e32 v63, v63, v22
	v_fma_f16 v69, v66, s16, v18
	v_fma_f16 v68, v66, s5, v68
	;; [unrolled: 1-line block ×4, first 2 shown]
	v_add_f16_e32 v66, v57, v59
	v_mul_f16_sdwa v72, v23, v12 dst_sel:DWORD dst_unused:UNUSED_PAD src0_sel:DWORD src1_sel:WORD_1
	v_fma_f16 v23, v23, v12, -v71
	v_sub_f16_e32 v70, v22, v20
	v_sub_f16_e32 v71, v24, v26
	v_add_f16_e32 v63, v63, v24
	v_fma_f16 v66, v66, -0.5, v30
	v_sub_f16_e32 v20, v20, v26
	v_add_f16_e32 v63, v63, v26
	v_fma_f16 v69, v65, s5, v69
	v_fma_f16 v68, v67, s12, v68
	;; [unrolled: 1-line block ×3, first 2 shown]
	v_add_f16_e32 v67, v70, v71
	v_fma_f16 v18, v65, s17, v18
	v_fma_f16 v26, v20, s16, v66
	v_sub_f16_e32 v22, v22, v24
	v_fma_f16 v69, v67, s12, v69
	v_fma_f16 v18, v67, s12, v18
	;; [unrolled: 1-line block ×3, first 2 shown]
	v_sub_f16_e32 v26, v32, v57
	v_sub_f16_e32 v67, v61, v59
	v_fma_f16 v66, v20, s4, v66
	v_add_f16_e32 v26, v26, v67
	v_fma_f16 v66, v22, s5, v66
	v_fma_f16 v24, v26, s12, v24
	;; [unrolled: 1-line block ×3, first 2 shown]
	v_add_f16_e32 v66, v32, v61
	v_mul_f16_sdwa v75, v60, v14 dst_sel:DWORD dst_unused:UNUSED_PAD src0_sel:DWORD src1_sel:WORD_1
	v_add_f16_e32 v65, v30, v32
	v_fma_f16 v30, v66, -0.5, v30
	v_mul_f16_sdwa v76, v25, v14 dst_sel:DWORD dst_unused:UNUSED_PAD src0_sel:DWORD src1_sel:WORD_1
	v_mul_f16_sdwa v80, v27, v51 dst_sel:DWORD dst_unused:UNUSED_PAD src0_sel:DWORD src1_sel:WORD_1
	v_fma_f16 v25, v25, v14, -v75
	v_add_f16_e32 v65, v65, v57
	v_fma_f16 v66, v22, s4, v30
	v_sub_f16_e32 v32, v57, v32
	v_sub_f16_e32 v57, v59, v61
	v_fma_f16 v22, v22, s16, v30
	v_mul_f16_sdwa v79, v62, v51 dst_sel:DWORD dst_unused:UNUSED_PAD src0_sel:DWORD src1_sel:WORD_1
	v_fma_f16 v62, v62, v51, v80
	v_fma_f16 v66, v20, s17, v66
	v_add_f16_e32 v32, v32, v57
	v_fma_f16 v20, v20, s5, v22
	v_add_f16_e32 v30, v23, v25
	v_fma_f16 v58, v58, v12, v72
	v_fma_f16 v60, v60, v14, v76
	v_fma_f16 v27, v27, v51, -v79
	v_add_f16_e32 v65, v65, v59
	v_fma_f16 v59, v32, s12, v66
	v_fma_f16 v20, v32, s12, v20
	v_fma_f16 v30, v30, -0.5, v19
	v_sub_f16_e32 v32, v52, v62
	v_add_f16_e32 v65, v65, v61
	v_fma_f16 v57, v32, s4, v30
	v_sub_f16_e32 v61, v58, v60
	v_sub_f16_e32 v66, v21, v23
	;; [unrolled: 1-line block ×3, first 2 shown]
	v_fma_f16 v30, v32, s16, v30
	v_fma_f16 v57, v61, s5, v57
	v_add_f16_e32 v66, v66, v67
	v_fma_f16 v30, v61, s17, v30
	v_fma_f16 v57, v66, s12, v57
	;; [unrolled: 1-line block ×3, first 2 shown]
	v_add_f16_e32 v66, v21, v27
	v_add_f16_e32 v22, v19, v21
	v_fma_f16 v19, v66, -0.5, v19
	v_add_f16_e32 v22, v22, v23
	v_fma_f16 v66, v61, s16, v19
	v_fma_f16 v19, v61, s4, v19
	v_add_f16_e32 v61, v58, v60
	v_add_f16_e32 v22, v22, v25
	v_sub_f16_e32 v67, v23, v21
	v_sub_f16_e32 v70, v25, v27
	v_fma_f16 v61, v61, -0.5, v31
	v_sub_f16_e32 v21, v21, v27
	v_add_f16_e32 v22, v22, v27
	v_fma_f16 v66, v32, s5, v66
	v_add_f16_e32 v67, v67, v70
	v_fma_f16 v19, v32, s17, v19
	v_fma_f16 v27, v21, s16, v61
	v_sub_f16_e32 v23, v23, v25
	v_fma_f16 v66, v67, s12, v66
	v_fma_f16 v19, v67, s12, v19
	;; [unrolled: 1-line block ×3, first 2 shown]
	v_sub_f16_e32 v27, v52, v58
	v_sub_f16_e32 v67, v62, v60
	v_fma_f16 v61, v21, s4, v61
	v_add_f16_e32 v27, v27, v67
	v_fma_f16 v61, v23, s5, v61
	v_fma_f16 v25, v27, s12, v25
	;; [unrolled: 1-line block ×3, first 2 shown]
	v_add_f16_e32 v61, v52, v62
	v_add_f16_e32 v32, v31, v52
	v_fma_f16 v31, v61, -0.5, v31
	v_add_f16_e32 v32, v32, v58
	v_fma_f16 v61, v23, s4, v31
	v_sub_f16_e32 v52, v58, v52
	v_sub_f16_e32 v58, v60, v62
	v_fma_f16 v23, v23, s16, v31
	v_add_f16_e32 v32, v32, v60
	v_fma_f16 v61, v21, s17, v61
	v_add_f16_e32 v52, v52, v58
	v_fma_f16 v21, v21, s5, v23
	v_add_f16_e32 v32, v32, v62
	v_fma_f16 v21, v52, s12, v21
	v_mul_f16_e32 v31, 0x38b4, v25
	v_mul_f16_e32 v62, 0x34f2, v19
	v_fma_f16 v58, v52, s12, v61
	v_fma_f16 v31, v57, s18, v31
	v_fma_f16 v62, v21, s4, -v62
	v_mul_f16_e32 v57, 0xb8b4, v57
	v_mul_f16_e32 v21, 0x34f2, v21
	;; [unrolled: 1-line block ×4, first 2 shown]
	v_fma_f16 v25, v25, s18, v57
	v_mul_f16_e32 v57, 0xbb9c, v66
	v_fma_f16 v19, v19, s16, -v21
	v_add_f16_e32 v23, v63, v22
	v_add_f16_e32 v60, v68, v31
	v_fma_f16 v52, v66, s12, v52
	v_fma_f16 v70, v27, s5, -v70
	v_add_f16_e32 v72, v65, v32
	v_add_f16_e32 v73, v24, v25
	v_fma_f16 v58, v58, s12, v57
	v_add_f16_e32 v21, v20, v19
	v_mul_f16_e32 v27, 0x3a79, v27
	v_sub_f16_e32 v19, v20, v19
	v_mul_u32_u24_e32 v20, 0x258, v28
	v_add_f16_e32 v61, v69, v52
	v_add_f16_e32 v67, v18, v62
	;; [unrolled: 1-line block ×3, first 2 shown]
	v_fma_f16 v27, v30, s17, -v27
	v_sub_f16_e32 v22, v63, v22
	v_sub_f16_e32 v63, v69, v52
	v_add_lshl_u32 v52, v20, v29, 2
	v_pack_b32_f16 v20, v23, v72
	v_pack_b32_f16 v23, v60, v73
	v_add_f16_e32 v71, v64, v70
	v_add_f16_e32 v30, v26, v27
	v_sub_f16_e32 v32, v65, v32
	ds_write2_b32 v52, v20, v23 offset1:60
	v_pack_b32_f16 v20, v61, v66
	v_pack_b32_f16 v21, v67, v21
	v_sub_f16_e32 v31, v68, v31
	v_sub_f16_e32 v24, v24, v25
	;; [unrolled: 1-line block ×3, first 2 shown]
	ds_write2_b32 v52, v20, v21 offset0:120 offset1:180
	v_pack_b32_f16 v20, v71, v30
	v_pack_b32_f16 v21, v22, v32
	v_add_u32_e32 v22, 0x200, v52
	v_sub_f16_e32 v18, v18, v62
	v_sub_f16_e32 v57, v64, v70
	;; [unrolled: 1-line block ×3, first 2 shown]
	ds_write2_b32 v22, v20, v21 offset0:112 offset1:172
	v_pack_b32_f16 v20, v31, v24
	v_pack_b32_f16 v21, v63, v25
	v_add_u32_e32 v22, 0x400, v52
	ds_write2_b32 v22, v20, v21 offset0:104 offset1:164
	v_pack_b32_f16 v18, v18, v19
	v_pack_b32_f16 v19, v57, v58
	v_add_u32_e32 v20, 0x600, v52
	ds_write2_b32 v20, v18, v19 offset0:96 offset1:156
	v_add_u32_e32 v18, 0x580, v34
	s_waitcnt lgkmcnt(0)
	s_barrier
	ds_read2_b32 v[25:26], v18 offset0:8 offset1:248
	v_add_u32_e32 v18, 0x1200, v34
	v_add_u32_e32 v59, 0xc00, v34
	ds_read2_b32 v[27:28], v34 offset1:180
	ds_read2_b32 v[31:32], v18 offset0:48 offset1:228
	ds_read2_b32 v[29:30], v59 offset0:12 offset1:192
	ds_read_b32 v60, v34 offset:6240
	v_cmp_gt_u16_e64 s[4:5], 60, v43
	s_and_saveexec_b64 s[16:17], s[4:5]
	s_cbranch_execz .LBB0_7
; %bb.6:
	ds_read_b32 v57, v34 offset:2160
	ds_read_b32 v53, v34 offset:4560
	;; [unrolled: 1-line block ×3, first 2 shown]
	s_waitcnt lgkmcnt(2)
	v_lshrrev_b32_e32 v58, 16, v57
	s_waitcnt lgkmcnt(1)
	v_lshrrev_b32_e32 v55, 16, v53
	;; [unrolled: 2-line block ×3, first 2 shown]
.LBB0_7:
	s_or_b64 exec, exec, s[16:17]
	v_lshlrev_b32_e32 v18, 3, v43
	v_lshlrev_b32_e32 v17, 3, v17
	global_load_dwordx2 v[19:20], v18, s[14:15] offset:2360
	global_load_dwordx2 v[21:22], v17, s[14:15] offset:2360
	v_add_u32_e32 v17, 0xb40, v18
	s_movk_i32 s12, 0x21c
	global_load_dwordx2 v[23:24], v17, s[14:15] offset:2360
	s_movk_i32 s18, 0xffc4
	v_add_co_u32_e32 v17, vcc, s12, v43
	v_addc_co_u32_e64 v18, s[16:17], 0, 0, vcc
	v_add_co_u32_e32 v62, vcc, s18, v43
	v_addc_co_u32_e64 v63, s[16:17], 0, -1, vcc
	v_cndmask_b32_e64 v18, v63, v18, s[4:5]
	v_cndmask_b32_e64 v17, v62, v17, s[4:5]
	v_lshlrev_b64 v[17:18], 3, v[17:18]
	v_mov_b32_e32 v61, s15
	v_add_co_u32_e32 v17, vcc, s14, v17
	v_addc_co_u32_e32 v18, vcc, v61, v18, vcc
	global_load_dwordx2 v[17:18], v[17:18], off offset:2360
	s_waitcnt lgkmcnt(4)
	v_lshrrev_b32_e32 v62, 16, v26
	s_waitcnt lgkmcnt(2)
	v_lshrrev_b32_e32 v63, 16, v31
	;; [unrolled: 2-line block ×3, first 2 shown]
	v_lshrrev_b32_e32 v66, 16, v32
	v_lshrrev_b32_e32 v68, 16, v30
	s_waitcnt lgkmcnt(0)
	v_lshrrev_b32_e32 v69, 16, v60
	v_lshrrev_b32_e32 v61, 16, v27
	s_movk_i32 s12, 0x3aee
	s_mov_b32 s14, 0xbaee
	v_lshrrev_b32_e32 v64, 16, v28
	v_lshrrev_b32_e32 v67, 16, v25
	s_waitcnt vmcnt(3)
	v_mul_f16_sdwa v70, v62, v19 dst_sel:DWORD dst_unused:UNUSED_PAD src0_sel:DWORD src1_sel:WORD_1
	v_mul_f16_sdwa v71, v26, v19 dst_sel:DWORD dst_unused:UNUSED_PAD src0_sel:DWORD src1_sel:WORD_1
	;; [unrolled: 1-line block ×4, first 2 shown]
	s_waitcnt vmcnt(2)
	v_mul_f16_sdwa v74, v65, v21 dst_sel:DWORD dst_unused:UNUSED_PAD src0_sel:DWORD src1_sel:WORD_1
	v_mul_f16_sdwa v76, v66, v22 dst_sel:DWORD dst_unused:UNUSED_PAD src0_sel:DWORD src1_sel:WORD_1
	;; [unrolled: 1-line block ×4, first 2 shown]
	v_fma_f16 v26, v26, v19, -v70
	v_fma_f16 v62, v62, v19, v71
	v_fma_f16 v31, v31, v20, -v72
	v_fma_f16 v63, v63, v20, v73
	v_fma_f16 v70, v29, v21, -v74
	v_fma_f16 v71, v32, v22, -v76
	s_waitcnt vmcnt(1)
	v_mul_f16_sdwa v29, v68, v23 dst_sel:DWORD dst_unused:UNUSED_PAD src0_sel:DWORD src1_sel:WORD_1
	v_mul_f16_sdwa v32, v30, v23 dst_sel:DWORD dst_unused:UNUSED_PAD src0_sel:DWORD src1_sel:WORD_1
	;; [unrolled: 1-line block ×4, first 2 shown]
	v_fma_f16 v74, v30, v23, -v29
	v_fma_f16 v68, v68, v23, v32
	v_fma_f16 v60, v60, v24, -v72
	v_add_f16_e32 v29, v27, v26
	v_sub_f16_e32 v32, v62, v63
	v_add_f16_e32 v72, v61, v62
	v_add_f16_e32 v62, v62, v63
	v_fma_f16 v65, v65, v21, v75
	v_fma_f16 v66, v66, v22, v77
	;; [unrolled: 1-line block ×3, first 2 shown]
	v_add_f16_e32 v30, v26, v31
	v_sub_f16_e32 v26, v26, v31
	v_add_f16_e32 v73, v28, v70
	v_add_f16_e32 v75, v70, v71
	;; [unrolled: 1-line block ×3, first 2 shown]
	v_fma_f16 v29, v62, -0.5, v61
	v_add_f16_e32 v61, v73, v71
	v_fma_f16 v28, v75, -0.5, v28
	v_fma_f16 v73, v26, s14, v29
	v_fma_f16 v75, v26, s12, v29
	s_waitcnt vmcnt(0)
	v_mul_f16_sdwa v26, v55, v17 dst_sel:DWORD dst_unused:UNUSED_PAD src0_sel:DWORD src1_sel:WORD_1
	v_fma_f16 v27, v30, -0.5, v27
	v_mul_f16_sdwa v30, v56, v18 dst_sel:DWORD dst_unused:UNUSED_PAD src0_sel:DWORD src1_sel:WORD_1
	v_fma_f16 v29, v53, v17, -v26
	v_add_f16_e32 v26, v64, v65
	v_add_f16_e32 v63, v72, v63
	v_fma_f16 v62, v32, s12, v27
	v_fma_f16 v72, v32, s14, v27
	v_mul_f16_sdwa v27, v53, v17 dst_sel:DWORD dst_unused:UNUSED_PAD src0_sel:DWORD src1_sel:WORD_1
	v_mul_f16_sdwa v32, v54, v18 dst_sel:DWORD dst_unused:UNUSED_PAD src0_sel:DWORD src1_sel:WORD_1
	v_fma_f16 v30, v54, v18, -v30
	v_add_f16_e32 v54, v26, v66
	v_add_f16_e32 v26, v65, v66
	v_fma_f16 v31, v55, v17, v27
	v_fma_f16 v26, v26, -0.5, v64
	v_sub_f16_e32 v27, v70, v71
	v_fma_f16 v32, v56, v18, v32
	v_fma_f16 v55, v27, s14, v26
	;; [unrolled: 1-line block ×3, first 2 shown]
	v_add_f16_e32 v26, v25, v74
	v_add_f16_e32 v64, v26, v60
	;; [unrolled: 1-line block ×3, first 2 shown]
	v_fma_f16 v25, v26, -0.5, v25
	v_sub_f16_e32 v26, v68, v69
	v_sub_f16_e32 v76, v65, v66
	v_fma_f16 v65, v26, s12, v25
	v_fma_f16 v66, v26, s14, v25
	v_add_f16_e32 v25, v67, v68
	v_add_f16_e32 v70, v25, v69
	;; [unrolled: 1-line block ×3, first 2 shown]
	v_fma_f16 v25, v25, -0.5, v67
	v_sub_f16_e32 v26, v74, v60
	v_fma_f16 v53, v76, s14, v28
	v_fma_f16 v60, v26, s14, v25
	;; [unrolled: 1-line block ×3, first 2 shown]
	v_add_f16_e32 v25, v29, v30
	v_pack_b32_f16 v62, v62, v73
	v_fma_f16 v26, v25, -0.5, v57
	v_sub_f16_e32 v27, v31, v32
	v_pack_b32_f16 v63, v77, v63
	ds_write_b32 v34, v62 offset:2400
	v_pack_b32_f16 v62, v72, v75
	v_pack_b32_f16 v54, v61, v54
	;; [unrolled: 1-line block ×3, first 2 shown]
	v_fma_f16 v78, v76, s12, v28
	v_fma_f16 v25, v27, s12, v26
	;; [unrolled: 1-line block ×3, first 2 shown]
	v_add_f16_e32 v27, v31, v32
	ds_write_b32 v34, v62 offset:4800
	ds_write2_b32 v34, v63, v54 offset1:180
	ds_write_b32 v34, v53 offset:5520
	v_pack_b32_f16 v53, v64, v70
	v_fma_f16 v27, v27, -0.5, v58
	v_sub_f16_e32 v68, v29, v30
	v_pack_b32_f16 v54, v78, v55
	ds_write_b32 v34, v53 offset:1440
	v_pack_b32_f16 v53, v65, v60
	v_fma_f16 v28, v68, s14, v27
	v_fma_f16 v27, v68, s12, v27
	ds_write2_b32 v59, v54, v53 offset0:12 offset1:192
	v_pack_b32_f16 v53, v66, v67
	ds_write_b32 v34, v53 offset:6240
	s_and_saveexec_b64 s[14:15], s[4:5]
	s_cbranch_execz .LBB0_9
; %bb.8:
	v_add_f16_e32 v31, v58, v31
	v_add_f16_e32 v29, v57, v29
	;; [unrolled: 1-line block ×4, first 2 shown]
	v_pack_b32_f16 v29, v29, v31
	s_mov_b32 s12, 0x5040100
	ds_write_b32 v34, v29 offset:2160
	v_perm_b32 v29, v28, v25, s12
	ds_write_b32 v34, v29 offset:4560
	v_perm_b32 v29, v27, v26, s12
	ds_write_b32 v34, v29 offset:6960
.LBB0_9:
	s_or_b64 exec, exec, s[14:15]
	v_mov_b32_e32 v29, s13
	v_addc_co_u32_e64 v53, vcc, 0, v29, s[2:3]
	v_add_co_u32_e32 v29, vcc, 0x1c20, v45
	s_mov_b64 s[2:3], vcc
	v_add_co_u32_e32 v30, vcc, 0x1000, v45
	v_addc_co_u32_e32 v31, vcc, 0, v53, vcc
	s_waitcnt lgkmcnt(0)
	s_barrier
	global_load_dword v54, v[30:31], off offset:3104
	v_addc_co_u32_e64 v30, vcc, 0, v53, s[2:3]
	global_load_dword v55, v[29:30], off offset:720
	global_load_dword v57, v[29:30], off offset:1440
	global_load_dword v58, v[29:30], off offset:2160
	global_load_dword v59, v[29:30], off offset:2880
	s_movk_i32 s2, 0x2000
	v_add_co_u32_e32 v31, vcc, s2, v45
	v_addc_co_u32_e32 v32, vcc, 0, v53, vcc
	global_load_dword v60, v[31:32], off offset:3328
	global_load_dword v61, v[31:32], off offset:4048
	;; [unrolled: 1-line block ×3, first 2 shown]
	s_movk_i32 s2, 0x3000
	v_add_co_u32_e32 v29, vcc, s2, v45
	v_addc_co_u32_e32 v30, vcc, 0, v53, vcc
	global_load_dword v45, v[29:30], off offset:672
	global_load_dword v63, v[29:30], off offset:1392
	ds_read2_b32 v[29:30], v34 offset1:180
	v_add_u32_e32 v64, 0x500, v34
	v_add_u32_e32 v65, 0xb00, v34
	;; [unrolled: 1-line block ×3, first 2 shown]
	s_mov_b32 s2, 0xbb9c
	s_waitcnt lgkmcnt(0)
	v_lshrrev_b32_e32 v31, 16, v29
	v_lshrrev_b32_e32 v32, 16, v30
	s_movk_i32 s13, 0x3b9c
	s_mov_b32 s3, 0xb8b4
	s_movk_i32 s14, 0x38b4
	s_movk_i32 s12, 0x34f2
	s_waitcnt vmcnt(8)
	v_mul_f16_sdwa v67, v32, v55 dst_sel:DWORD dst_unused:UNUSED_PAD src0_sel:DWORD src1_sel:WORD_1
	v_mul_f16_sdwa v53, v31, v54 dst_sel:DWORD dst_unused:UNUSED_PAD src0_sel:DWORD src1_sel:WORD_1
	;; [unrolled: 1-line block ×4, first 2 shown]
	v_fma_f16 v29, v29, v54, -v53
	v_fma_f16 v31, v31, v54, v56
	v_fma_f16 v30, v30, v55, -v67
	v_fma_f16 v32, v32, v55, v68
	v_pack_b32_f16 v29, v29, v31
	v_pack_b32_f16 v30, v30, v32
	ds_write2_b32 v34, v29, v30 offset1:180
	ds_read2_b32 v[29:30], v64 offset0:40 offset1:220
	v_add_u32_e32 v67, 0x1600, v34
	ds_read2_b32 v[31:32], v65 offset0:16 offset1:196
	ds_read2_b32 v[53:54], v66 offset0:56 offset1:236
	;; [unrolled: 1-line block ×3, first 2 shown]
	s_waitcnt lgkmcnt(3)
	v_lshrrev_b32_e32 v68, 16, v29
	s_waitcnt vmcnt(7)
	v_mul_f16_sdwa v69, v29, v57 dst_sel:DWORD dst_unused:UNUSED_PAD src0_sel:DWORD src1_sel:WORD_1
	v_lshrrev_b32_e32 v70, 16, v30
	s_waitcnt vmcnt(6)
	v_mul_f16_sdwa v71, v30, v58 dst_sel:DWORD dst_unused:UNUSED_PAD src0_sel:DWORD src1_sel:WORD_1
	s_waitcnt lgkmcnt(2)
	v_lshrrev_b32_e32 v72, 16, v31
	s_waitcnt vmcnt(5)
	v_mul_f16_sdwa v73, v31, v59 dst_sel:DWORD dst_unused:UNUSED_PAD src0_sel:DWORD src1_sel:WORD_1
	v_lshrrev_b32_e32 v74, 16, v32
	s_waitcnt vmcnt(2)
	v_mul_f16_sdwa v75, v32, v62 dst_sel:DWORD dst_unused:UNUSED_PAD src0_sel:DWORD src1_sel:WORD_1
	s_waitcnt lgkmcnt(1)
	v_lshrrev_b32_e32 v76, 16, v53
	v_mul_f16_sdwa v77, v53, v60 dst_sel:DWORD dst_unused:UNUSED_PAD src0_sel:DWORD src1_sel:WORD_1
	v_lshrrev_b32_e32 v78, 16, v54
	v_mul_f16_sdwa v80, v68, v57 dst_sel:DWORD dst_unused:UNUSED_PAD src0_sel:DWORD src1_sel:WORD_1
	v_fma_f16 v68, v68, v57, v69
	v_mul_f16_sdwa v69, v70, v58 dst_sel:DWORD dst_unused:UNUSED_PAD src0_sel:DWORD src1_sel:WORD_1
	v_mul_f16_sdwa v79, v54, v61 dst_sel:DWORD dst_unused:UNUSED_PAD src0_sel:DWORD src1_sel:WORD_1
	v_fma_f16 v70, v70, v58, v71
	v_mul_f16_sdwa v71, v72, v59 dst_sel:DWORD dst_unused:UNUSED_PAD src0_sel:DWORD src1_sel:WORD_1
	v_fma_f16 v72, v72, v59, v73
	;; [unrolled: 2-line block ×4, first 2 shown]
	v_mul_f16_sdwa v77, v78, v61 dst_sel:DWORD dst_unused:UNUSED_PAD src0_sel:DWORD src1_sel:WORD_1
	v_fma_f16 v29, v29, v57, -v80
	v_fma_f16 v30, v30, v58, -v69
	v_fma_f16 v78, v78, v61, v79
	v_fma_f16 v31, v31, v59, -v71
	v_fma_f16 v32, v32, v62, -v73
	;; [unrolled: 1-line block ×4, first 2 shown]
	v_pack_b32_f16 v29, v29, v68
	v_pack_b32_f16 v30, v30, v70
	;; [unrolled: 1-line block ×6, first 2 shown]
	ds_write2_b32 v64, v29, v30 offset0:40 offset1:220
	ds_write2_b32 v65, v31, v32 offset0:16 offset1:196
	;; [unrolled: 1-line block ×3, first 2 shown]
	s_waitcnt lgkmcnt(3)
	v_lshrrev_b32_e32 v29, 16, v55
	s_waitcnt vmcnt(1)
	v_mul_f16_sdwa v30, v29, v45 dst_sel:DWORD dst_unused:UNUSED_PAD src0_sel:DWORD src1_sel:WORD_1
	v_mul_f16_sdwa v31, v55, v45 dst_sel:DWORD dst_unused:UNUSED_PAD src0_sel:DWORD src1_sel:WORD_1
	v_fma_f16 v30, v55, v45, -v30
	v_fma_f16 v29, v29, v45, v31
	v_pack_b32_f16 v29, v30, v29
	v_lshrrev_b32_e32 v30, 16, v56
	s_waitcnt vmcnt(0)
	v_mul_f16_sdwa v31, v30, v63 dst_sel:DWORD dst_unused:UNUSED_PAD src0_sel:DWORD src1_sel:WORD_1
	v_mul_f16_sdwa v32, v56, v63 dst_sel:DWORD dst_unused:UNUSED_PAD src0_sel:DWORD src1_sel:WORD_1
	v_fma_f16 v31, v56, v63, -v31
	v_fma_f16 v30, v30, v63, v32
	v_pack_b32_f16 v30, v31, v30
	ds_write2_b32 v67, v29, v30 offset0:32 offset1:212
	s_waitcnt lgkmcnt(0)
	s_barrier
	ds_read2_b32 v[29:30], v34 offset1:180
	ds_read2_b32 v[31:32], v65 offset0:16 offset1:196
	ds_read2_b32 v[53:54], v66 offset0:56 offset1:236
	;; [unrolled: 1-line block ×4, first 2 shown]
	s_waitcnt lgkmcnt(0)
	s_barrier
	v_add_f16_e32 v45, v31, v53
	v_fma_f16 v45, v45, -0.5, v29
	v_sub_f16_sdwa v59, v55, v57 dst_sel:DWORD dst_unused:UNUSED_PAD src0_sel:WORD_1 src1_sel:WORD_1
	v_fma_f16 v60, v59, s2, v45
	v_sub_f16_sdwa v61, v31, v53 dst_sel:DWORD dst_unused:UNUSED_PAD src0_sel:WORD_1 src1_sel:WORD_1
	v_sub_f16_e32 v62, v57, v53
	v_sub_f16_e32 v63, v55, v31
	v_fma_f16 v45, v59, s13, v45
	v_fma_f16 v60, v61, s3, v60
	v_add_f16_e32 v62, v63, v62
	v_fma_f16 v45, v61, s14, v45
	v_fma_f16 v60, v62, s12, v60
	;; [unrolled: 1-line block ×3, first 2 shown]
	v_add_f16_e32 v62, v55, v57
	v_fma_f16 v62, v62, -0.5, v29
	v_fma_f16 v63, v61, s13, v62
	v_sub_f16_e32 v64, v53, v57
	v_sub_f16_e32 v65, v31, v55
	v_fma_f16 v61, v61, s2, v62
	v_fma_f16 v63, v59, s3, v63
	v_add_f16_e32 v64, v65, v64
	v_fma_f16 v59, v59, s14, v61
	v_pk_add_f16 v61, v29, v55
	v_add_f16_sdwa v62, v31, v53 dst_sel:DWORD dst_unused:UNUSED_PAD src0_sel:WORD_1 src1_sel:WORD_1
	v_lshrrev_b32_e32 v29, 16, v29
	v_fma_f16 v63, v64, s12, v63
	v_fma_f16 v59, v64, s12, v59
	v_fma_f16 v62, v62, -0.5, v29
	v_sub_f16_e32 v64, v55, v57
	v_fma_f16 v65, v64, s13, v62
	v_sub_f16_e32 v66, v31, v53
	v_sub_f16_sdwa v67, v55, v31 dst_sel:DWORD dst_unused:UNUSED_PAD src0_sel:WORD_1 src1_sel:WORD_1
	v_sub_f16_sdwa v68, v57, v53 dst_sel:DWORD dst_unused:UNUSED_PAD src0_sel:WORD_1 src1_sel:WORD_1
	v_fma_f16 v62, v64, s2, v62
	v_fma_f16 v65, v66, s14, v65
	v_add_f16_e32 v67, v67, v68
	v_fma_f16 v62, v66, s3, v62
	v_fma_f16 v65, v67, s12, v65
	v_fma_f16 v62, v67, s12, v62
	v_add_f16_sdwa v67, v55, v57 dst_sel:DWORD dst_unused:UNUSED_PAD src0_sel:WORD_1 src1_sel:WORD_1
	v_pk_add_f16 v61, v61, v31
	v_fma_f16 v29, v67, -0.5, v29
	v_pk_add_f16 v61, v61, v53
	v_fma_f16 v67, v66, s2, v29
	v_sub_f16_sdwa v31, v31, v55 dst_sel:DWORD dst_unused:UNUSED_PAD src0_sel:WORD_1 src1_sel:WORD_1
	v_sub_f16_sdwa v53, v53, v57 dst_sel:DWORD dst_unused:UNUSED_PAD src0_sel:WORD_1 src1_sel:WORD_1
	v_fma_f16 v29, v66, s13, v29
	v_add_f16_e32 v31, v31, v53
	v_fma_f16 v29, v64, s3, v29
	v_pk_add_f16 v61, v61, v57
	v_fma_f16 v67, v64, s14, v67
	v_fma_f16 v57, v31, s12, v29
	v_add_f16_e32 v29, v32, v54
	v_fma_f16 v53, v31, s12, v67
	v_fma_f16 v29, v29, -0.5, v30
	v_sub_f16_sdwa v31, v56, v58 dst_sel:DWORD dst_unused:UNUSED_PAD src0_sel:WORD_1 src1_sel:WORD_1
	v_fma_f16 v55, v31, s2, v29
	v_sub_f16_sdwa v64, v32, v54 dst_sel:DWORD dst_unused:UNUSED_PAD src0_sel:WORD_1 src1_sel:WORD_1
	v_sub_f16_e32 v66, v58, v54
	v_sub_f16_e32 v67, v56, v32
	v_fma_f16 v29, v31, s13, v29
	v_fma_f16 v55, v64, s3, v55
	v_add_f16_e32 v66, v67, v66
	v_fma_f16 v29, v64, s14, v29
	v_fma_f16 v55, v66, s12, v55
	;; [unrolled: 1-line block ×3, first 2 shown]
	v_add_f16_e32 v66, v56, v58
	v_fma_f16 v66, v66, -0.5, v30
	v_fma_f16 v67, v64, s13, v66
	v_sub_f16_e32 v68, v54, v58
	v_sub_f16_e32 v69, v32, v56
	v_fma_f16 v64, v64, s2, v66
	v_fma_f16 v67, v31, s3, v67
	v_add_f16_e32 v68, v69, v68
	v_fma_f16 v31, v31, s14, v64
	v_pk_add_f16 v64, v30, v56
	v_add_f16_sdwa v66, v32, v54 dst_sel:DWORD dst_unused:UNUSED_PAD src0_sel:WORD_1 src1_sel:WORD_1
	v_lshrrev_b32_e32 v30, 16, v30
	v_fma_f16 v67, v68, s12, v67
	v_fma_f16 v31, v68, s12, v31
	v_fma_f16 v66, v66, -0.5, v30
	v_sub_f16_e32 v68, v56, v58
	v_fma_f16 v69, v68, s13, v66
	v_sub_f16_e32 v70, v32, v54
	v_sub_f16_sdwa v71, v56, v32 dst_sel:DWORD dst_unused:UNUSED_PAD src0_sel:WORD_1 src1_sel:WORD_1
	v_sub_f16_sdwa v72, v58, v54 dst_sel:DWORD dst_unused:UNUSED_PAD src0_sel:WORD_1 src1_sel:WORD_1
	v_fma_f16 v66, v68, s2, v66
	v_fma_f16 v69, v70, s14, v69
	v_add_f16_e32 v71, v71, v72
	v_fma_f16 v66, v70, s3, v66
	v_fma_f16 v69, v71, s12, v69
	;; [unrolled: 1-line block ×3, first 2 shown]
	v_add_f16_sdwa v71, v56, v58 dst_sel:DWORD dst_unused:UNUSED_PAD src0_sel:WORD_1 src1_sel:WORD_1
	v_pk_add_f16 v64, v64, v32
	v_fma_f16 v30, v71, -0.5, v30
	v_pk_add_f16 v64, v64, v54
	v_fma_f16 v71, v70, s2, v30
	v_sub_f16_sdwa v32, v32, v56 dst_sel:DWORD dst_unused:UNUSED_PAD src0_sel:WORD_1 src1_sel:WORD_1
	v_sub_f16_sdwa v54, v54, v58 dst_sel:DWORD dst_unused:UNUSED_PAD src0_sel:WORD_1 src1_sel:WORD_1
	v_fma_f16 v71, v68, s14, v71
	v_add_f16_e32 v32, v32, v54
	v_fma_f16 v30, v70, s13, v30
	v_fma_f16 v54, v32, s12, v71
	;; [unrolled: 1-line block ×4, first 2 shown]
	v_mul_f16_e32 v32, 0xb8b4, v69
	s_movk_i32 s2, 0x3a79
	v_mul_f16_e32 v56, 0xbb9c, v54
	v_pk_add_f16 v64, v64, v58
	v_fma_f16 v32, v55, s2, v32
	v_fma_f16 v58, v67, s12, v56
	v_mul_f16_e32 v56, 0xbb9c, v30
	s_mov_b32 s3, 0xb4f2
	v_mul_f16_e32 v55, 0x38b4, v55
	v_mul_f16_e32 v54, 0x34f2, v54
	;; [unrolled: 1-line block ×3, first 2 shown]
	v_fma_f16 v71, v31, s3, v56
	v_mul_f16_e32 v56, 0xb8b4, v66
	s_mov_b32 s3, 0xba79
	v_fma_f16 v55, v69, s2, v55
	v_fma_f16 v54, v67, s13, v54
	;; [unrolled: 1-line block ×3, first 2 shown]
	v_mul_f16_e32 v30, 0xba79, v66
	v_add_f16_e32 v68, v60, v32
	v_add_f16_e32 v70, v63, v58
	;; [unrolled: 1-line block ×3, first 2 shown]
	v_fma_f16 v73, v29, s3, v56
	v_add_f16_e32 v69, v65, v55
	v_add_f16_e32 v67, v53, v54
	;; [unrolled: 1-line block ×3, first 2 shown]
	v_fma_f16 v66, v29, s14, v30
	v_add_f16_e32 v74, v45, v73
	v_pk_add_f16 v56, v61, v64
	v_add_f16_e32 v77, v62, v66
	v_sub_f16_e32 v29, v60, v32
	v_sub_f16_e32 v31, v63, v58
	;; [unrolled: 1-line block ×6, first 2 shown]
	v_pack_b32_f16 v59, v72, v76
	v_pack_b32_f16 v58, v70, v67
	;; [unrolled: 1-line block ×3, first 2 shown]
	v_sub_f16_e32 v45, v45, v73
	v_sub_f16_e32 v53, v62, v66
	ds_write2_b64 v46, v[56:57], v[58:59] offset1:1
	v_pk_add_f16 v57, v61, v64 neg_lo:[0,1] neg_hi:[0,1]
	v_pack_b32_f16 v59, v31, v55
	v_pack_b32_f16 v58, v29, v30
	;; [unrolled: 1-line block ×3, first 2 shown]
	ds_write2_b64 v46, v[56:57], v[58:59] offset0:2 offset1:3
	v_pack_b32_f16 v57, v45, v53
	v_pack_b32_f16 v56, v32, v54
	ds_write_b64 v46, v[56:57] offset:32
	s_waitcnt lgkmcnt(0)
	s_barrier
	ds_read_b32 v46, v34
	ds_read_b32 v60, v34 offset:1200
	ds_read_b32 v59, v34 offset:2400
	;; [unrolled: 1-line block ×5, first 2 shown]
	s_and_saveexec_b64 s[2:3], s[0:1]
	s_cbranch_execz .LBB0_11
; %bb.10:
	ds_read_b32 v29, v34 offset:720
	ds_read_b32 v31, v34 offset:1920
	;; [unrolled: 1-line block ×6, first 2 shown]
	s_waitcnt lgkmcnt(5)
	v_lshrrev_b32_e32 v30, 16, v29
	s_waitcnt lgkmcnt(4)
	v_lshrrev_b32_e32 v55, 16, v31
	;; [unrolled: 2-line block ×6, first 2 shown]
.LBB0_11:
	s_or_b64 exec, exec, s[2:3]
	s_waitcnt lgkmcnt(4)
	v_lshrrev_b32_e32 v62, 16, v60
	v_mul_f16_sdwa v67, v4, v62 dst_sel:DWORD dst_unused:UNUSED_PAD src0_sel:WORD_1 src1_sel:DWORD
	s_waitcnt lgkmcnt(3)
	v_lshrrev_b32_e32 v63, 16, v59
	v_fma_f16 v67, v4, v60, v67
	v_mul_f16_sdwa v60, v4, v60 dst_sel:DWORD dst_unused:UNUSED_PAD src0_sel:WORD_1 src1_sel:DWORD
	v_fma_f16 v60, v4, v62, -v60
	v_mul_f16_sdwa v4, v5, v63 dst_sel:DWORD dst_unused:UNUSED_PAD src0_sel:WORD_1 src1_sel:DWORD
	s_waitcnt lgkmcnt(2)
	v_lshrrev_b32_e32 v64, 16, v58
	v_fma_f16 v62, v5, v59, v4
	v_mul_f16_sdwa v4, v5, v59 dst_sel:DWORD dst_unused:UNUSED_PAD src0_sel:WORD_1 src1_sel:DWORD
	v_fma_f16 v59, v5, v63, -v4
	;; [unrolled: 6-line block ×4, first 2 shown]
	v_mul_f16_sdwa v4, v48, v66 dst_sel:DWORD dst_unused:UNUSED_PAD src0_sel:WORD_1 src1_sel:DWORD
	v_fma_f16 v65, v48, v56, v4
	v_mul_f16_sdwa v4, v48, v56 dst_sel:DWORD dst_unused:UNUSED_PAD src0_sel:WORD_1 src1_sel:DWORD
	v_fma_f16 v48, v48, v66, -v4
	v_mul_f16_sdwa v4, v0, v55 dst_sel:DWORD dst_unused:UNUSED_PAD src0_sel:WORD_1 src1_sel:DWORD
	v_mul_f16_sdwa v5, v0, v31 dst_sel:DWORD dst_unused:UNUSED_PAD src0_sel:WORD_1 src1_sel:DWORD
	v_fma_f16 v4, v0, v31, v4
	v_fma_f16 v5, v0, v55, -v5
	v_mul_f16_sdwa v0, v1, v54 dst_sel:DWORD dst_unused:UNUSED_PAD src0_sel:WORD_1 src1_sel:DWORD
	v_mul_f16_sdwa v6, v1, v32 dst_sel:DWORD dst_unused:UNUSED_PAD src0_sel:WORD_1 src1_sel:DWORD
	v_fma_f16 v0, v1, v32, v0
	;; [unrolled: 4-line block ×3, first 2 shown]
	v_fma_f16 v7, v2, v53, -v7
	v_mul_f16_sdwa v2, v3, v28 dst_sel:DWORD dst_unused:UNUSED_PAD src0_sel:WORD_1 src1_sel:DWORD
	v_fma_f16 v2, v3, v25, v2
	v_mul_f16_sdwa v25, v3, v25 dst_sel:DWORD dst_unused:UNUSED_PAD src0_sel:WORD_1 src1_sel:DWORD
	v_add_f16_e32 v53, v63, v65
	v_fma_f16 v31, v3, v28, -v25
	v_mul_f16_sdwa v3, v47, v27 dst_sel:DWORD dst_unused:UNUSED_PAD src0_sel:WORD_1 src1_sel:DWORD
	s_mov_b32 s2, 0xbaee
	s_movk_i32 s3, 0x3aee
	v_fma_f16 v53, v53, -0.5, v67
	v_sub_f16_e32 v54, v58, v48
	v_fma_f16 v3, v47, v26, v3
	v_mul_f16_sdwa v25, v47, v26 dst_sel:DWORD dst_unused:UNUSED_PAD src0_sel:WORD_1 src1_sel:DWORD
	v_add_f16_e32 v26, v62, v64
	v_fma_f16 v55, v54, s2, v53
	v_fma_f16 v53, v54, s3, v53
	v_add_f16_e32 v54, v60, v58
	v_lshrrev_b32_e32 v61, 16, v46
	v_fma_f16 v32, v47, v27, -v25
	v_fma_f16 v26, v26, -0.5, v46
	v_sub_f16_e32 v27, v59, v57
	v_add_f16_e32 v45, v59, v57
	v_add_f16_e32 v54, v54, v48
	;; [unrolled: 1-line block ×4, first 2 shown]
	v_fma_f16 v28, v27, s2, v26
	v_fma_f16 v26, v27, s3, v26
	v_add_f16_e32 v27, v61, v59
	v_fma_f16 v45, v45, -0.5, v61
	v_sub_f16_e32 v46, v62, v64
	v_fma_f16 v48, v48, -0.5, v60
	v_sub_f16_e32 v56, v63, v65
	v_add_f16_e32 v27, v27, v57
	v_fma_f16 v47, v46, s3, v45
	v_fma_f16 v45, v46, s2, v45
	v_add_f16_e32 v46, v67, v63
	v_fma_f16 v57, v56, s3, v48
	v_fma_f16 v48, v56, s2, v48
	v_add_f16_e32 v25, v25, v64
	v_add_f16_e32 v46, v46, v65
	v_mul_f16_e32 v60, 0xbaee, v48
	v_add_f16_e32 v58, v25, v46
	v_fma_f16 v60, v53, -0.5, v60
	v_mul_f16_e32 v48, -0.5, v48
	v_sub_f16_e32 v64, v25, v46
	v_add_f16_e32 v25, v0, v2
	v_add_f16_e32 v61, v26, v60
	v_fma_f16 v48, v53, s3, v48
	v_sub_f16_e32 v60, v26, v60
	v_fma_f16 v25, v25, -0.5, v29
	v_sub_f16_e32 v26, v6, v31
	v_mul_f16_e32 v56, 0xbaee, v57
	v_mul_f16_e32 v57, 0.5, v57
	v_add_f16_e32 v63, v45, v48
	v_sub_f16_e32 v68, v45, v48
	v_fma_f16 v45, v26, s2, v25
	v_fma_f16 v46, v26, s3, v25
	v_add_f16_e32 v25, v6, v31
	v_fma_f16 v56, v55, 0.5, v56
	v_fma_f16 v55, v55, s3, v57
	v_fma_f16 v25, v25, -0.5, v30
	v_sub_f16_e32 v26, v0, v2
	v_add_f16_e32 v57, v47, v55
	v_sub_f16_e32 v67, v47, v55
	v_fma_f16 v47, v26, s3, v25
	v_fma_f16 v48, v26, s2, v25
	v_add_f16_e32 v25, v1, v3
	v_fma_f16 v25, v25, -0.5, v4
	v_sub_f16_e32 v26, v7, v32
	v_add_f16_e32 v62, v27, v54
	v_sub_f16_e32 v66, v27, v54
	v_fma_f16 v27, v26, s2, v25
	v_fma_f16 v25, v26, s3, v25
	v_add_f16_e32 v26, v7, v32
	v_add_f16_e32 v59, v28, v56
	v_sub_f16_e32 v65, v28, v56
	v_fma_f16 v26, v26, -0.5, v5
	v_sub_f16_e32 v28, v1, v3
	v_fma_f16 v55, v28, s3, v26
	v_fma_f16 v26, v28, s2, v26
	v_mul_f16_e32 v28, 0xbaee, v55
	v_fma_f16 v53, v27, 0.5, v28
	v_mul_f16_e32 v28, 0xbaee, v26
	v_fma_f16 v54, v25, -0.5, v28
	v_mul_f16_e32 v28, 0.5, v55
	v_mul_f16_e32 v26, -0.5, v26
	v_pack_b32_f16 v58, v58, v62
	v_pack_b32_f16 v57, v59, v57
	v_fma_f16 v55, v27, s3, v28
	v_fma_f16 v56, v25, s3, v26
	s_barrier
	ds_write2_b32 v50, v58, v57 offset1:10
	v_pack_b32_f16 v57, v61, v63
	v_pack_b32_f16 v58, v64, v66
	v_sub_f16_e32 v25, v45, v53
	v_sub_f16_e32 v26, v46, v54
	;; [unrolled: 1-line block ×4, first 2 shown]
	ds_write2_b32 v50, v57, v58 offset0:20 offset1:30
	v_pack_b32_f16 v57, v65, v67
	v_pack_b32_f16 v58, v60, v68
	ds_write2_b32 v50, v57, v58 offset0:40 offset1:50
	s_and_saveexec_b64 s[2:3], s[0:1]
	s_cbranch_execz .LBB0_13
; %bb.12:
	v_add_f16_e32 v6, v30, v6
	v_add_f16_e32 v5, v5, v7
	;; [unrolled: 1-line block ×8, first 2 shown]
	v_sub_f16_e32 v7, v6, v5
	v_sub_f16_e32 v2, v0, v1
	v_add_f16_e32 v4, v47, v55
	v_add_f16_e32 v5, v6, v5
	;; [unrolled: 1-line block ×6, first 2 shown]
	v_lshlrev_b32_e32 v1, 2, v49
	v_pack_b32_f16 v0, v0, v5
	v_pack_b32_f16 v4, v29, v4
	ds_write2_b32 v1, v0, v4 offset1:10
	v_pack_b32_f16 v0, v6, v3
	v_pack_b32_f16 v2, v2, v7
	s_mov_b32 s0, 0x5040100
	ds_write2_b32 v1, v0, v2 offset0:20 offset1:30
	v_perm_b32 v0, v27, v25, s0
	v_perm_b32 v2, v28, v26, s0
	ds_write2_b32 v1, v0, v2 offset0:40 offset1:50
.LBB0_13:
	s_or_b64 exec, exec, s[2:3]
	s_waitcnt lgkmcnt(0)
	s_barrier
	ds_read2_b32 v[0:1], v34 offset1:180
	v_add_u32_e32 v2, 0x500, v34
	ds_read2_b32 v[2:3], v2 offset0:40 offset1:220
	v_add_u32_e32 v4, 0xb00, v34
	ds_read2_b32 v[4:5], v4 offset0:16 offset1:196
	s_waitcnt lgkmcnt(2)
	v_lshrrev_b32_e32 v32, 16, v1
	v_mul_f16_sdwa v55, v8, v32 dst_sel:DWORD dst_unused:UNUSED_PAD src0_sel:WORD_1 src1_sel:DWORD
	s_waitcnt lgkmcnt(1)
	v_lshrrev_b32_e32 v45, 16, v2
	v_fma_f16 v55, v8, v1, v55
	v_mul_f16_sdwa v1, v8, v1 dst_sel:DWORD dst_unused:UNUSED_PAD src0_sel:WORD_1 src1_sel:DWORD
	v_fma_f16 v1, v8, v32, -v1
	v_mul_f16_sdwa v8, v9, v45 dst_sel:DWORD dst_unused:UNUSED_PAD src0_sel:WORD_1 src1_sel:DWORD
	v_lshrrev_b32_e32 v46, 16, v3
	v_add_u32_e32 v6, 0x1000, v34
	v_fma_f16 v8, v9, v2, v8
	v_mul_f16_sdwa v2, v9, v2 dst_sel:DWORD dst_unused:UNUSED_PAD src0_sel:WORD_1 src1_sel:DWORD
	ds_read2_b32 v[6:7], v6 offset0:56 offset1:236
	v_fma_f16 v2, v9, v45, -v2
	v_mul_f16_sdwa v9, v10, v46 dst_sel:DWORD dst_unused:UNUSED_PAD src0_sel:WORD_1 src1_sel:DWORD
	s_waitcnt lgkmcnt(1)
	v_lshrrev_b32_e32 v47, 16, v4
	v_fma_f16 v9, v10, v3, v9
	v_mul_f16_sdwa v3, v10, v3 dst_sel:DWORD dst_unused:UNUSED_PAD src0_sel:WORD_1 src1_sel:DWORD
	v_fma_f16 v3, v10, v46, -v3
	v_mul_f16_sdwa v10, v11, v47 dst_sel:DWORD dst_unused:UNUSED_PAD src0_sel:WORD_1 src1_sel:DWORD
	v_add_u32_e32 v29, 0x1600, v34
	v_lshrrev_b32_e32 v48, 16, v5
	v_fma_f16 v10, v11, v4, v10
	v_mul_f16_sdwa v4, v11, v4 dst_sel:DWORD dst_unused:UNUSED_PAD src0_sel:WORD_1 src1_sel:DWORD
	ds_read2_b32 v[29:30], v29 offset0:32 offset1:212
	v_fma_f16 v4, v11, v47, -v4
	v_mul_f16_sdwa v11, v12, v48 dst_sel:DWORD dst_unused:UNUSED_PAD src0_sel:WORD_1 src1_sel:DWORD
	s_waitcnt lgkmcnt(1)
	v_lshrrev_b32_e32 v49, 16, v6
	v_fma_f16 v11, v12, v5, v11
	v_mul_f16_sdwa v5, v12, v5 dst_sel:DWORD dst_unused:UNUSED_PAD src0_sel:WORD_1 src1_sel:DWORD
	v_fma_f16 v5, v12, v48, -v5
	v_mul_f16_sdwa v12, v13, v49 dst_sel:DWORD dst_unused:UNUSED_PAD src0_sel:WORD_1 src1_sel:DWORD
	v_lshrrev_b32_e32 v50, 16, v7
	v_fma_f16 v12, v13, v6, v12
	v_mul_f16_sdwa v6, v13, v6 dst_sel:DWORD dst_unused:UNUSED_PAD src0_sel:WORD_1 src1_sel:DWORD
	v_fma_f16 v6, v13, v49, -v6
	v_mul_f16_sdwa v13, v14, v50 dst_sel:DWORD dst_unused:UNUSED_PAD src0_sel:WORD_1 src1_sel:DWORD
	s_waitcnt lgkmcnt(0)
	v_lshrrev_b32_e32 v53, 16, v29
	v_fma_f16 v13, v14, v7, v13
	v_mul_f16_sdwa v7, v14, v7 dst_sel:DWORD dst_unused:UNUSED_PAD src0_sel:WORD_1 src1_sel:DWORD
	v_fma_f16 v7, v14, v50, -v7
	v_mul_f16_sdwa v14, v15, v53 dst_sel:DWORD dst_unused:UNUSED_PAD src0_sel:WORD_1 src1_sel:DWORD
	v_fma_f16 v14, v15, v29, v14
	v_mul_f16_sdwa v29, v15, v29 dst_sel:DWORD dst_unused:UNUSED_PAD src0_sel:WORD_1 src1_sel:DWORD
	v_fma_f16 v15, v15, v53, -v29
	v_add_f16_e32 v45, v10, v12
	v_fma_f16 v45, v45, -0.5, v0
	v_sub_f16_e32 v46, v2, v15
	s_mov_b32 s0, 0xbb9c
	s_movk_i32 s3, 0x3b9c
	v_fma_f16 v47, v46, s0, v45
	v_sub_f16_e32 v48, v4, v6
	s_mov_b32 s1, 0xb8b4
	v_sub_f16_e32 v49, v8, v10
	v_sub_f16_e32 v50, v14, v12
	v_fma_f16 v45, v46, s3, v45
	s_movk_i32 s12, 0x38b4
	v_fma_f16 v47, v48, s1, v47
	v_add_f16_e32 v49, v49, v50
	s_movk_i32 s2, 0x34f2
	v_fma_f16 v45, v48, s12, v45
	v_lshrrev_b32_e32 v54, 16, v30
	v_fma_f16 v47, v49, s2, v47
	v_fma_f16 v45, v49, s2, v45
	v_add_f16_e32 v49, v8, v14
	v_lshrrev_b32_e32 v31, 16, v0
	v_mul_f16_sdwa v29, v51, v54 dst_sel:DWORD dst_unused:UNUSED_PAD src0_sel:WORD_1 src1_sel:DWORD
	v_add_f16_e32 v32, v0, v8
	v_fma_f16 v0, v49, -0.5, v0
	v_fma_f16 v29, v51, v30, v29
	v_mul_f16_sdwa v30, v51, v30 dst_sel:DWORD dst_unused:UNUSED_PAD src0_sel:WORD_1 src1_sel:DWORD
	v_add_f16_e32 v32, v32, v10
	v_fma_f16 v49, v48, s3, v0
	v_fma_f16 v0, v48, s0, v0
	v_add_f16_e32 v48, v4, v6
	v_fma_f16 v30, v51, v54, -v30
	v_add_f16_e32 v32, v32, v12
	v_sub_f16_e32 v50, v10, v8
	v_sub_f16_e32 v51, v12, v14
	v_fma_f16 v48, v48, -0.5, v31
	v_sub_f16_e32 v8, v8, v14
	v_add_f16_e32 v32, v32, v14
	v_fma_f16 v49, v46, s1, v49
	v_add_f16_e32 v50, v50, v51
	v_fma_f16 v0, v46, s12, v0
	v_fma_f16 v14, v8, s3, v48
	v_sub_f16_e32 v10, v10, v12
	v_fma_f16 v49, v50, s2, v49
	v_fma_f16 v0, v50, s2, v0
	;; [unrolled: 1-line block ×3, first 2 shown]
	v_sub_f16_e32 v14, v2, v4
	v_sub_f16_e32 v50, v15, v6
	v_fma_f16 v48, v8, s0, v48
	v_add_f16_e32 v14, v14, v50
	v_fma_f16 v48, v10, s1, v48
	v_add_f16_e32 v46, v31, v2
	v_fma_f16 v12, v14, s2, v12
	v_fma_f16 v14, v14, s2, v48
	v_add_f16_e32 v48, v2, v15
	v_add_f16_e32 v46, v46, v4
	v_fma_f16 v31, v48, -0.5, v31
	v_add_f16_e32 v46, v46, v6
	v_fma_f16 v48, v10, s0, v31
	v_sub_f16_e32 v2, v4, v2
	v_sub_f16_e32 v4, v6, v15
	v_fma_f16 v6, v10, s3, v31
	v_fma_f16 v48, v8, s12, v48
	;; [unrolled: 1-line block ×3, first 2 shown]
	v_add_f16_e32 v8, v11, v13
	v_add_f16_e32 v2, v2, v4
	v_fma_f16 v8, v8, -0.5, v55
	v_sub_f16_e32 v10, v3, v30
	v_add_f16_e32 v46, v46, v15
	v_fma_f16 v4, v2, s2, v48
	v_fma_f16 v15, v10, s0, v8
	v_sub_f16_e32 v31, v5, v7
	v_sub_f16_e32 v48, v9, v11
	v_sub_f16_e32 v50, v29, v13
	v_fma_f16 v8, v10, s3, v8
	v_fma_f16 v15, v31, s1, v15
	v_add_f16_e32 v48, v48, v50
	v_fma_f16 v8, v31, s12, v8
	v_fma_f16 v15, v48, s2, v15
	;; [unrolled: 1-line block ×3, first 2 shown]
	v_add_f16_e32 v48, v9, v29
	v_fma_f16 v2, v2, s2, v6
	v_add_f16_e32 v6, v55, v9
	v_fma_f16 v48, v48, -0.5, v55
	v_add_f16_e32 v6, v6, v11
	v_fma_f16 v50, v31, s3, v48
	v_fma_f16 v31, v31, s0, v48
	v_add_f16_e32 v48, v5, v7
	v_add_f16_e32 v6, v6, v13
	v_sub_f16_e32 v51, v11, v9
	v_sub_f16_e32 v53, v13, v29
	v_fma_f16 v48, v48, -0.5, v1
	v_sub_f16_e32 v9, v9, v29
	v_add_f16_e32 v6, v6, v29
	v_fma_f16 v50, v10, s1, v50
	v_add_f16_e32 v51, v51, v53
	v_fma_f16 v10, v10, s12, v31
	v_fma_f16 v29, v9, s3, v48
	v_sub_f16_e32 v11, v11, v13
	v_fma_f16 v50, v51, s2, v50
	v_fma_f16 v10, v51, s2, v10
	;; [unrolled: 1-line block ×3, first 2 shown]
	v_sub_f16_e32 v29, v3, v5
	v_sub_f16_e32 v51, v30, v7
	v_fma_f16 v48, v9, s0, v48
	v_add_f16_e32 v29, v29, v51
	v_fma_f16 v48, v11, s1, v48
	v_fma_f16 v13, v29, s2, v13
	v_fma_f16 v29, v29, s2, v48
	v_add_f16_e32 v48, v3, v30
	v_add_f16_e32 v31, v1, v3
	v_fma_f16 v1, v48, -0.5, v1
	v_add_f16_e32 v31, v31, v5
	v_fma_f16 v48, v11, s0, v1
	v_sub_f16_e32 v3, v5, v3
	v_sub_f16_e32 v5, v7, v30
	v_fma_f16 v1, v11, s3, v1
	v_fma_f16 v48, v9, s12, v48
	v_add_f16_e32 v3, v3, v5
	v_fma_f16 v1, v9, s1, v1
	v_add_f16_e32 v31, v31, v7
	v_fma_f16 v5, v3, s2, v48
	v_fma_f16 v1, v3, s2, v1
	v_mul_f16_e32 v7, 0xb8b4, v13
	s_movk_i32 s0, 0x3a79
	v_mul_f16_e32 v13, 0x3a79, v13
	v_add_f16_e32 v31, v31, v30
	v_fma_f16 v7, v15, s0, v7
	v_mul_f16_e32 v9, 0xbb9c, v5
	v_mul_f16_e32 v48, 0xbb9c, v1
	s_mov_b32 s0, 0xb4f2
	v_fma_f16 v13, v15, s12, v13
	v_mul_f16_e32 v5, 0x34f2, v5
	v_mul_f16_e32 v1, 0xb4f2, v1
	v_add_f16_e32 v3, v32, v6
	v_add_f16_e32 v11, v47, v7
	v_fma_f16 v9, v50, s2, v9
	v_fma_f16 v48, v10, s0, v48
	v_mul_f16_e32 v53, 0xb8b4, v29
	s_mov_b32 s0, 0xba79
	v_add_f16_e32 v55, v46, v31
	v_add_f16_e32 v15, v12, v13
	v_fma_f16 v5, v50, s3, v5
	v_fma_f16 v1, v10, s3, v1
	v_mul_f16_e32 v29, 0xba79, v29
	v_add_f16_e32 v30, v49, v9
	v_add_f16_e32 v51, v0, v48
	v_fma_f16 v53, v8, s0, v53
	v_add_f16_e32 v50, v4, v5
	v_add_f16_e32 v10, v2, v1
	v_fma_f16 v29, v8, s12, v29
	v_sub_f16_e32 v1, v2, v1
	v_pack_b32_f16 v2, v3, v55
	v_pack_b32_f16 v3, v11, v15
	v_add_f16_e32 v54, v45, v53
	v_add_f16_e32 v56, v14, v29
	v_sub_f16_e32 v6, v32, v6
	v_sub_f16_e32 v31, v46, v31
	s_barrier
	ds_write2_b32 v52, v2, v3 offset1:60
	v_pack_b32_f16 v2, v30, v50
	v_pack_b32_f16 v3, v51, v10
	v_sub_f16_e32 v7, v47, v7
	v_sub_f16_e32 v32, v49, v9
	;; [unrolled: 1-line block ×4, first 2 shown]
	ds_write2_b32 v52, v2, v3 offset0:120 offset1:180
	v_pack_b32_f16 v2, v54, v56
	v_pack_b32_f16 v3, v6, v31
	v_add_u32_e32 v5, 0x200, v52
	v_sub_f16_e32 v0, v0, v48
	v_sub_f16_e32 v8, v45, v53
	v_sub_f16_e32 v9, v14, v29
	ds_write2_b32 v5, v2, v3 offset0:112 offset1:172
	v_pack_b32_f16 v2, v7, v12
	v_pack_b32_f16 v3, v32, v4
	v_add_u32_e32 v4, 0x400, v52
	ds_write2_b32 v4, v2, v3 offset0:104 offset1:164
	v_pack_b32_f16 v0, v0, v1
	v_pack_b32_f16 v1, v8, v9
	v_add_u32_e32 v2, 0x600, v52
	ds_write2_b32 v2, v0, v1 offset0:96 offset1:156
	v_add_u32_e32 v0, 0x580, v34
	v_add_u32_e32 v4, 0x1200, v34
	;; [unrolled: 1-line block ×3, first 2 shown]
	s_waitcnt lgkmcnt(0)
	s_barrier
	ds_read2_b32 v[2:3], v34 offset1:180
	ds_read2_b32 v[0:1], v0 offset0:8 offset1:248
	ds_read2_b32 v[6:7], v4 offset0:48 offset1:228
	;; [unrolled: 1-line block ×3, first 2 shown]
	ds_read_b32 v11, v34 offset:6240
	s_and_saveexec_b64 s[0:1], s[4:5]
	s_cbranch_execz .LBB0_15
; %bb.14:
	ds_read_b32 v8, v34 offset:2160
	ds_read_b32 v25, v34 offset:4560
	;; [unrolled: 1-line block ×3, first 2 shown]
	s_waitcnt lgkmcnt(2)
	v_lshrrev_b32_e32 v9, 16, v8
	s_waitcnt lgkmcnt(1)
	v_lshrrev_b32_e32 v27, 16, v25
	;; [unrolled: 2-line block ×3, first 2 shown]
.LBB0_15:
	s_or_b64 exec, exec, s[0:1]
	s_waitcnt lgkmcnt(3)
	v_lshrrev_b32_e32 v13, 16, v1
	v_mul_f16_sdwa v46, v19, v13 dst_sel:DWORD dst_unused:UNUSED_PAD src0_sel:WORD_1 src1_sel:DWORD
	s_waitcnt lgkmcnt(2)
	v_lshrrev_b32_e32 v14, 16, v6
	v_fma_f16 v46, v19, v1, v46
	v_mul_f16_sdwa v1, v19, v1 dst_sel:DWORD dst_unused:UNUSED_PAD src0_sel:WORD_1 src1_sel:DWORD
	v_fma_f16 v1, v19, v13, -v1
	v_mul_f16_sdwa v13, v20, v14 dst_sel:DWORD dst_unused:UNUSED_PAD src0_sel:WORD_1 src1_sel:DWORD
	s_waitcnt lgkmcnt(1)
	v_lshrrev_b32_e32 v29, 16, v4
	v_lshrrev_b32_e32 v32, 16, v5
	v_fma_f16 v13, v20, v6, v13
	v_mul_f16_sdwa v6, v20, v6 dst_sel:DWORD dst_unused:UNUSED_PAD src0_sel:WORD_1 src1_sel:DWORD
	v_lshrrev_b32_e32 v30, 16, v7
	v_fma_f16 v6, v20, v14, -v6
	v_mul_f16_sdwa v14, v21, v29 dst_sel:DWORD dst_unused:UNUSED_PAD src0_sel:WORD_1 src1_sel:DWORD
	v_mul_f16_sdwa v20, v23, v32 dst_sel:DWORD dst_unused:UNUSED_PAD src0_sel:WORD_1 src1_sel:DWORD
	s_waitcnt lgkmcnt(0)
	v_lshrrev_b32_e32 v45, 16, v11
	v_fma_f16 v14, v21, v4, v14
	v_mul_f16_sdwa v4, v21, v4 dst_sel:DWORD dst_unused:UNUSED_PAD src0_sel:WORD_1 src1_sel:DWORD
	v_mul_f16_sdwa v19, v22, v30 dst_sel:DWORD dst_unused:UNUSED_PAD src0_sel:WORD_1 src1_sel:DWORD
	v_fma_f16 v20, v23, v5, v20
	v_mul_f16_sdwa v5, v23, v5 dst_sel:DWORD dst_unused:UNUSED_PAD src0_sel:WORD_1 src1_sel:DWORD
	v_fma_f16 v4, v21, v29, -v4
	v_fma_f16 v19, v22, v7, v19
	v_mul_f16_sdwa v7, v22, v7 dst_sel:DWORD dst_unused:UNUSED_PAD src0_sel:WORD_1 src1_sel:DWORD
	v_fma_f16 v5, v23, v32, -v5
	v_mul_f16_sdwa v21, v24, v45 dst_sel:DWORD dst_unused:UNUSED_PAD src0_sel:WORD_1 src1_sel:DWORD
	v_add_f16_e32 v23, v46, v13
	v_lshrrev_b32_e32 v12, 16, v2
	v_fma_f16 v7, v22, v30, -v7
	v_fma_f16 v21, v24, v11, v21
	v_mul_f16_sdwa v11, v24, v11 dst_sel:DWORD dst_unused:UNUSED_PAD src0_sel:WORD_1 src1_sel:DWORD
	v_add_f16_e32 v22, v2, v46
	v_fma_f16 v2, v23, -0.5, v2
	v_sub_f16_e32 v23, v1, v6
	s_mov_b32 s2, 0xbaee
	s_movk_i32 s3, 0x3aee
	v_fma_f16 v11, v24, v45, -v11
	v_fma_f16 v24, v23, s2, v2
	v_fma_f16 v2, v23, s3, v2
	v_add_f16_e32 v23, v12, v1
	v_add_f16_e32 v1, v1, v6
	;; [unrolled: 1-line block ×4, first 2 shown]
	v_fma_f16 v1, v1, -0.5, v12
	v_sub_f16_e32 v6, v46, v13
	v_add_f16_e32 v13, v14, v19
	v_lshrrev_b32_e32 v15, 16, v3
	v_fma_f16 v12, v6, s3, v1
	v_fma_f16 v1, v6, s2, v1
	v_add_f16_e32 v6, v3, v14
	v_fma_f16 v3, v13, -0.5, v3
	v_sub_f16_e32 v13, v4, v7
	v_fma_f16 v29, v13, s2, v3
	v_fma_f16 v3, v13, s3, v3
	v_add_f16_e32 v13, v15, v4
	v_add_f16_e32 v4, v4, v7
	;; [unrolled: 1-line block ×3, first 2 shown]
	v_fma_f16 v4, v4, -0.5, v15
	v_sub_f16_e32 v7, v14, v19
	v_add_f16_e32 v15, v20, v21
	v_lshrrev_b32_e32 v31, 16, v0
	v_fma_f16 v14, v7, s3, v4
	v_fma_f16 v4, v7, s2, v4
	v_add_f16_e32 v7, v0, v20
	v_fma_f16 v0, v15, -0.5, v0
	v_sub_f16_e32 v15, v5, v11
	v_add_f16_e32 v6, v6, v19
	v_fma_f16 v19, v15, s2, v0
	v_fma_f16 v0, v15, s3, v0
	v_add_f16_e32 v15, v31, v5
	v_add_f16_e32 v5, v5, v11
	;; [unrolled: 1-line block ×3, first 2 shown]
	v_fma_f16 v5, v5, -0.5, v31
	v_sub_f16_e32 v11, v20, v21
	v_pack_b32_f16 v1, v2, v1
	v_add_f16_e32 v7, v7, v21
	v_fma_f16 v20, v11, s3, v5
	v_fma_f16 v5, v11, s2, v5
	v_pack_b32_f16 v11, v22, v23
	v_pack_b32_f16 v12, v24, v12
	ds_write_b32 v34, v1 offset:4800
	v_pack_b32_f16 v1, v6, v13
	v_pack_b32_f16 v2, v3, v4
	ds_write_b32 v34, v12 offset:2400
	ds_write2_b32 v34, v11, v1 offset1:180
	ds_write_b32 v34, v2 offset:5520
	v_pack_b32_f16 v2, v7, v15
	v_pack_b32_f16 v1, v29, v14
	ds_write_b32 v34, v2 offset:1440
	v_pack_b32_f16 v2, v19, v20
	v_pack_b32_f16 v0, v0, v5
	ds_write2_b32 v10, v1, v2 offset0:12 offset1:192
	ds_write_b32 v34, v0 offset:6240
	s_and_saveexec_b64 s[0:1], s[4:5]
	s_cbranch_execz .LBB0_17
; %bb.16:
	v_mul_f16_sdwa v0, v17, v25 dst_sel:DWORD dst_unused:UNUSED_PAD src0_sel:WORD_1 src1_sel:DWORD
	v_mul_f16_sdwa v1, v18, v26 dst_sel:DWORD dst_unused:UNUSED_PAD src0_sel:WORD_1 src1_sel:DWORD
	v_fma_f16 v0, v17, v27, -v0
	v_fma_f16 v1, v18, v28, -v1
	v_mul_f16_sdwa v3, v17, v27 dst_sel:DWORD dst_unused:UNUSED_PAD src0_sel:WORD_1 src1_sel:DWORD
	v_mul_f16_sdwa v4, v18, v28 dst_sel:DWORD dst_unused:UNUSED_PAD src0_sel:WORD_1 src1_sel:DWORD
	v_add_f16_e32 v2, v0, v1
	v_fma_f16 v3, v17, v25, v3
	v_fma_f16 v4, v18, v26, v4
	v_fma_f16 v2, v2, -0.5, v9
	v_sub_f16_e32 v5, v3, v4
	v_add_f16_e32 v7, v3, v4
	v_fma_f16 v6, v5, s2, v2
	v_fma_f16 v2, v5, s3, v2
	v_add_f16_e32 v5, v9, v0
	v_fma_f16 v7, v7, -0.5, v8
	v_sub_f16_e32 v0, v0, v1
	v_add_f16_e32 v5, v5, v1
	v_fma_f16 v1, v0, s3, v7
	v_fma_f16 v0, v0, s2, v7
	v_add_f16_e32 v3, v8, v3
	v_add_f16_e32 v3, v3, v4
	v_pack_b32_f16 v0, v0, v2
	v_pack_b32_f16 v3, v3, v5
	ds_write_b32 v34, v0 offset:4560
	v_pack_b32_f16 v0, v1, v6
	ds_write_b32 v34, v3 offset:2160
	ds_write_b32 v34, v0 offset:6960
.LBB0_17:
	s_or_b64 exec, exec, s[0:1]
	s_waitcnt lgkmcnt(0)
	s_barrier
	ds_read2_b32 v[0:1], v34 offset1:180
	s_mov_b32 s2, 0x789abcdf
	s_mov_b32 s3, 0x3f423456
	v_mad_u64_u32 v[4:5], s[0:1], s10, v16, 0
	s_waitcnt lgkmcnt(0)
	v_lshrrev_b32_e32 v7, 16, v0
	v_mul_f16_sdwa v2, v44, v7 dst_sel:DWORD dst_unused:UNUSED_PAD src0_sel:WORD_1 src1_sel:DWORD
	v_fma_f16 v2, v44, v0, v2
	v_cvt_f32_f16_e32 v2, v2
	s_movk_i32 s4, 0x1ff
	v_mad_u64_u32 v[5:6], s[0:1], s11, v16, v[5:6]
	v_cvt_f64_f32_e32 v[2:3], v2
	s_movk_i32 s5, 0xffe
	v_mul_f16_sdwa v0, v44, v0 dst_sel:DWORD dst_unused:UNUSED_PAD src0_sel:WORD_1 src1_sel:DWORD
	v_fma_f16 v0, v44, v7, -v0
	v_mul_f64 v[2:3], v[2:3], s[2:3]
	v_cvt_f32_f16_e32 v7, v0
	v_mov_b32_e32 v0, 0x7c00
	s_movk_i32 s10, 0x40f
	s_mov_b32 s11, 0x8000
	v_lshrrev_b32_e32 v11, 16, v1
	v_and_or_b32 v2, v3, s4, v2
	v_cmp_ne_u32_e32 vcc, 0, v2
	v_lshrrev_b32_e32 v6, 8, v3
	v_bfe_u32 v8, v3, 20, 11
	v_cndmask_b32_e64 v2, 0, 1, vcc
	v_sub_u32_e32 v9, 0x3f1, v8
	v_and_or_b32 v2, v6, s5, v2
	v_or_b32_e32 v6, 0x1000, v2
	v_med3_i32 v9, v9, 0, 13
	v_lshrrev_b32_e32 v10, v9, v6
	v_lshlrev_b32_e32 v9, v9, v10
	v_cmp_ne_u32_e32 vcc, v9, v6
	v_cndmask_b32_e64 v6, 0, 1, vcc
	v_add_u32_e32 v8, 0xfffffc10, v8
	v_or_b32_e32 v6, v10, v6
	v_lshl_or_b32 v9, v8, 12, v2
	v_cmp_gt_i32_e32 vcc, 1, v8
	v_cndmask_b32_e32 v6, v9, v6, vcc
	v_and_b32_e32 v9, 7, v6
	v_cmp_lt_i32_e32 vcc, 5, v9
	v_cmp_eq_u32_e64 s[0:1], 3, v9
	v_lshrrev_b32_e32 v6, 2, v6
	s_or_b64 vcc, s[0:1], vcc
	v_addc_co_u32_e32 v9, vcc, 0, v6, vcc
	v_cvt_f64_f32_e32 v[6:7], v7
	v_cmp_gt_i32_e32 vcc, 31, v8
	v_cndmask_b32_e32 v9, v0, v9, vcc
	v_cmp_ne_u32_e32 vcc, 0, v2
	v_mul_f64 v[6:7], v[6:7], s[2:3]
	v_cndmask_b32_e64 v2, 0, 1, vcc
	v_lshl_or_b32 v2, v2, 9, v0
	v_cmp_eq_u32_e32 vcc, s10, v8
	v_cndmask_b32_e32 v2, v9, v2, vcc
	v_lshrrev_b32_e32 v3, 16, v3
	v_and_or_b32 v8, v3, s11, v2
	v_and_b32_e32 v8, 0xffff, v8
	v_and_or_b32 v2, v7, s4, v6
	v_cmp_ne_u32_e32 vcc, 0, v2
	v_cndmask_b32_e64 v2, 0, 1, vcc
	v_lshrrev_b32_e32 v3, 8, v7
	v_bfe_u32 v6, v7, 20, 11
	v_and_or_b32 v2, v3, s5, v2
	v_sub_u32_e32 v9, 0x3f1, v6
	v_or_b32_e32 v3, 0x1000, v2
	v_med3_i32 v9, v9, 0, 13
	v_lshrrev_b32_e32 v10, v9, v3
	v_lshlrev_b32_e32 v9, v9, v10
	v_cmp_ne_u32_e32 vcc, v9, v3
	v_cndmask_b32_e64 v3, 0, 1, vcc
	v_add_u32_e32 v6, 0xfffffc10, v6
	v_or_b32_e32 v3, v10, v3
	v_lshl_or_b32 v9, v6, 12, v2
	v_cmp_gt_i32_e32 vcc, 1, v6
	v_cndmask_b32_e32 v3, v9, v3, vcc
	v_and_b32_e32 v9, 7, v3
	v_cmp_lt_i32_e32 vcc, 5, v9
	v_cmp_eq_u32_e64 s[0:1], 3, v9
	v_lshrrev_b32_e32 v3, 2, v3
	s_or_b64 vcc, s[0:1], vcc
	v_addc_co_u32_e32 v3, vcc, 0, v3, vcc
	v_cmp_gt_i32_e32 vcc, 31, v6
	v_cndmask_b32_e32 v9, v0, v3, vcc
	v_cmp_ne_u32_e32 vcc, 0, v2
	v_cndmask_b32_e64 v2, 0, 1, vcc
	v_lshl_or_b32 v10, v2, 9, v0
	v_mad_u64_u32 v[2:3], s[0:1], s8, v43, 0
	v_cmp_eq_u32_e32 vcc, s10, v6
	v_cndmask_b32_e32 v9, v9, v10, vcc
	v_lshrrev_b32_e32 v10, 16, v7
	v_mad_u64_u32 v[6:7], s[0:1], s9, v43, v[3:4]
	v_mul_f16_sdwa v3, v42, v11 dst_sel:DWORD dst_unused:UNUSED_PAD src0_sel:WORD_1 src1_sel:DWORD
	v_fma_f16 v3, v42, v1, v3
	v_cvt_f32_f16_e32 v7, v3
	v_mov_b32_e32 v3, v6
	v_lshlrev_b64 v[4:5], 2, v[4:5]
	v_and_or_b32 v9, v10, s11, v9
	v_cvt_f64_f32_e32 v[6:7], v7
	v_lshl_or_b32 v8, v9, 16, v8
	v_mov_b32_e32 v9, s7
	v_add_co_u32_e32 v4, vcc, s6, v4
	v_mul_f64 v[6:7], v[6:7], s[2:3]
	v_lshlrev_b64 v[2:3], 2, v[2:3]
	v_addc_co_u32_e32 v5, vcc, v9, v5, vcc
	v_add_co_u32_e32 v2, vcc, v4, v2
	v_addc_co_u32_e32 v3, vcc, v5, v3, vcc
	v_and_or_b32 v4, v7, s4, v6
	v_cmp_ne_u32_e32 vcc, 0, v4
	v_cndmask_b32_e64 v4, 0, 1, vcc
	v_lshrrev_b32_e32 v5, 8, v7
	v_and_or_b32 v6, v5, s5, v4
	v_bfe_u32 v5, v7, 20, 11
	global_store_dword v[2:3], v8, off
	v_sub_u32_e32 v8, 0x3f1, v5
	v_or_b32_e32 v4, 0x1000, v6
	v_med3_i32 v8, v8, 0, 13
	v_lshrrev_b32_e32 v9, v8, v4
	v_lshlrev_b32_e32 v8, v8, v9
	v_mul_f16_sdwa v1, v42, v1 dst_sel:DWORD dst_unused:UNUSED_PAD src0_sel:WORD_1 src1_sel:DWORD
	v_cmp_ne_u32_e32 vcc, v8, v4
	v_fma_f16 v1, v42, v11, -v1
	v_cndmask_b32_e64 v4, 0, 1, vcc
	v_add_u32_e32 v8, 0xfffffc10, v5
	v_cvt_f32_f16_e32 v1, v1
	v_or_b32_e32 v4, v9, v4
	v_lshl_or_b32 v5, v8, 12, v6
	v_cmp_gt_i32_e32 vcc, 1, v8
	v_cndmask_b32_e32 v4, v5, v4, vcc
	v_and_b32_e32 v5, 7, v4
	v_cmp_lt_i32_e32 vcc, 5, v5
	v_cmp_eq_u32_e64 s[0:1], 3, v5
	v_lshrrev_b32_e32 v9, 2, v4
	v_cvt_f64_f32_e32 v[4:5], v1
	s_or_b64 vcc, s[0:1], vcc
	v_addc_co_u32_e32 v1, vcc, 0, v9, vcc
	v_mul_f64 v[4:5], v[4:5], s[2:3]
	v_cmp_gt_i32_e32 vcc, 31, v8
	v_cndmask_b32_e32 v1, v0, v1, vcc
	v_cmp_ne_u32_e32 vcc, 0, v6
	v_cndmask_b32_e64 v6, 0, 1, vcc
	v_lshl_or_b32 v6, v6, 9, v0
	v_cmp_eq_u32_e32 vcc, s10, v8
	v_cndmask_b32_e32 v1, v1, v6, vcc
	v_and_or_b32 v4, v5, s4, v4
	v_lshrrev_b32_e32 v6, 16, v7
	v_cmp_ne_u32_e32 vcc, 0, v4
	v_and_or_b32 v1, v6, s11, v1
	v_cndmask_b32_e64 v4, 0, 1, vcc
	v_lshrrev_b32_e32 v6, 8, v5
	v_bfe_u32 v7, v5, 20, 11
	v_and_or_b32 v4, v6, s5, v4
	v_sub_u32_e32 v8, 0x3f1, v7
	v_or_b32_e32 v6, 0x1000, v4
	v_med3_i32 v8, v8, 0, 13
	v_lshrrev_b32_e32 v9, v8, v6
	v_lshlrev_b32_e32 v8, v8, v9
	v_cmp_ne_u32_e32 vcc, v8, v6
	v_cndmask_b32_e64 v6, 0, 1, vcc
	v_add_u32_e32 v8, 0xfffffc10, v7
	v_or_b32_e32 v6, v9, v6
	v_lshl_or_b32 v7, v8, 12, v4
	v_cmp_gt_i32_e32 vcc, 1, v8
	v_cndmask_b32_e32 v6, v7, v6, vcc
	v_and_b32_e32 v7, 7, v6
	v_cmp_lt_i32_e32 vcc, 5, v7
	v_cmp_eq_u32_e64 s[0:1], 3, v7
	v_lshrrev_b32_e32 v6, 2, v6
	s_or_b64 vcc, s[0:1], vcc
	v_addc_co_u32_e32 v6, vcc, 0, v6, vcc
	v_cmp_gt_i32_e32 vcc, 31, v8
	v_cndmask_b32_e32 v9, v0, v6, vcc
	v_add_u32_e32 v6, 0x500, v34
	ds_read2_b32 v[6:7], v6 offset0:40 offset1:220
	v_cmp_ne_u32_e32 vcc, 0, v4
	v_cndmask_b32_e64 v4, 0, 1, vcc
	v_lshl_or_b32 v4, v4, 9, v0
	v_cmp_eq_u32_e32 vcc, s10, v8
	s_waitcnt lgkmcnt(0)
	v_lshrrev_b32_e32 v8, 16, v6
	v_cndmask_b32_e32 v4, v9, v4, vcc
	v_mul_f16_sdwa v9, v41, v8 dst_sel:DWORD dst_unused:UNUSED_PAD src0_sel:WORD_1 src1_sel:DWORD
	v_fma_f16 v9, v41, v6, v9
	v_cvt_f32_f16_e32 v9, v9
	v_lshrrev_b32_e32 v5, 16, v5
	v_and_or_b32 v4, v5, s11, v4
	v_and_b32_e32 v1, 0xffff, v1
	v_lshl_or_b32 v10, v4, 16, v1
	v_cvt_f64_f32_e32 v[4:5], v9
	s_mul_i32 s0, s9, 0x2d0
	s_mul_hi_u32 s6, s8, 0x2d0
	s_add_i32 s6, s6, s0
	v_mul_f64 v[4:5], v[4:5], s[2:3]
	s_mul_i32 s7, s8, 0x2d0
	v_mov_b32_e32 v9, s6
	v_add_co_u32_e32 v1, vcc, s7, v2
	v_addc_co_u32_e32 v2, vcc, v3, v9, vcc
	global_store_dword v[1:2], v10, off
	v_and_or_b32 v3, v5, s4, v4
	v_cmp_ne_u32_e32 vcc, 0, v3
	v_cndmask_b32_e64 v3, 0, 1, vcc
	v_lshrrev_b32_e32 v4, 8, v5
	v_and_or_b32 v9, v4, s5, v3
	v_bfe_u32 v4, v5, 20, 11
	v_sub_u32_e32 v10, 0x3f1, v4
	v_or_b32_e32 v3, 0x1000, v9
	v_med3_i32 v10, v10, 0, 13
	v_lshrrev_b32_e32 v11, v10, v3
	v_lshlrev_b32_e32 v10, v10, v11
	v_mul_f16_sdwa v6, v41, v6 dst_sel:DWORD dst_unused:UNUSED_PAD src0_sel:WORD_1 src1_sel:DWORD
	v_cmp_ne_u32_e32 vcc, v10, v3
	v_fma_f16 v6, v41, v8, -v6
	v_cndmask_b32_e64 v3, 0, 1, vcc
	v_add_u32_e32 v10, 0xfffffc10, v4
	v_cvt_f32_f16_e32 v6, v6
	v_or_b32_e32 v3, v11, v3
	v_lshl_or_b32 v4, v10, 12, v9
	v_cmp_gt_i32_e32 vcc, 1, v10
	v_cndmask_b32_e32 v3, v4, v3, vcc
	v_and_b32_e32 v4, 7, v3
	v_cmp_lt_i32_e32 vcc, 5, v4
	v_cmp_eq_u32_e64 s[0:1], 3, v4
	v_lshrrev_b32_e32 v8, 2, v3
	v_cvt_f64_f32_e32 v[3:4], v6
	s_or_b64 vcc, s[0:1], vcc
	v_addc_co_u32_e32 v6, vcc, 0, v8, vcc
	v_mul_f64 v[3:4], v[3:4], s[2:3]
	v_cmp_gt_i32_e32 vcc, 31, v10
	v_cndmask_b32_e32 v6, v0, v6, vcc
	v_cmp_ne_u32_e32 vcc, 0, v9
	v_cndmask_b32_e64 v8, 0, 1, vcc
	v_lshl_or_b32 v8, v8, 9, v0
	v_cmp_eq_u32_e32 vcc, s10, v10
	v_cndmask_b32_e32 v6, v6, v8, vcc
	v_and_or_b32 v3, v4, s4, v3
	v_lshrrev_b32_e32 v5, 16, v5
	v_cmp_ne_u32_e32 vcc, 0, v3
	v_and_or_b32 v8, v5, s11, v6
	v_cndmask_b32_e64 v3, 0, 1, vcc
	v_lshrrev_b32_e32 v5, 8, v4
	v_bfe_u32 v6, v4, 20, 11
	v_and_or_b32 v3, v5, s5, v3
	v_sub_u32_e32 v9, 0x3f1, v6
	v_or_b32_e32 v5, 0x1000, v3
	v_med3_i32 v9, v9, 0, 13
	v_lshrrev_b32_e32 v10, v9, v5
	v_lshlrev_b32_e32 v9, v9, v10
	v_cmp_ne_u32_e32 vcc, v9, v5
	v_cndmask_b32_e64 v5, 0, 1, vcc
	v_add_u32_e32 v6, 0xfffffc10, v6
	v_or_b32_e32 v5, v10, v5
	v_lshl_or_b32 v9, v6, 12, v3
	v_cmp_gt_i32_e32 vcc, 1, v6
	v_cndmask_b32_e32 v5, v9, v5, vcc
	v_and_b32_e32 v9, 7, v5
	v_cmp_lt_i32_e32 vcc, 5, v9
	v_cmp_eq_u32_e64 s[0:1], 3, v9
	v_lshrrev_b32_e32 v9, 16, v7
	v_lshrrev_b32_e32 v5, 2, v5
	s_or_b64 vcc, s[0:1], vcc
	v_mul_f16_sdwa v10, v40, v9 dst_sel:DWORD dst_unused:UNUSED_PAD src0_sel:WORD_1 src1_sel:DWORD
	v_addc_co_u32_e32 v5, vcc, 0, v5, vcc
	v_fma_f16 v10, v40, v7, v10
	v_cmp_gt_i32_e32 vcc, 31, v6
	v_cvt_f32_f16_e32 v10, v10
	v_cndmask_b32_e32 v5, v0, v5, vcc
	v_cmp_ne_u32_e32 vcc, 0, v3
	v_cndmask_b32_e64 v3, 0, 1, vcc
	v_lshl_or_b32 v3, v3, 9, v0
	v_cmp_eq_u32_e32 vcc, s10, v6
	v_cndmask_b32_e32 v3, v5, v3, vcc
	v_cvt_f64_f32_e32 v[5:6], v10
	v_lshrrev_b32_e32 v4, 16, v4
	v_and_or_b32 v10, v4, s11, v3
	v_add_co_u32_e32 v1, vcc, s7, v1
	v_mul_f64 v[3:4], v[5:6], s[2:3]
	v_mov_b32_e32 v6, s6
	v_and_b32_e32 v8, 0xffff, v8
	v_addc_co_u32_e32 v2, vcc, v2, v6, vcc
	v_lshl_or_b32 v5, v10, 16, v8
	global_store_dword v[1:2], v5, off
	v_mul_f16_sdwa v7, v40, v7 dst_sel:DWORD dst_unused:UNUSED_PAD src0_sel:WORD_1 src1_sel:DWORD
	v_and_or_b32 v3, v4, s4, v3
	v_cmp_ne_u32_e32 vcc, 0, v3
	v_cndmask_b32_e64 v3, 0, 1, vcc
	v_lshrrev_b32_e32 v5, 8, v4
	v_bfe_u32 v6, v4, 20, 11
	v_and_or_b32 v3, v5, s5, v3
	v_sub_u32_e32 v8, 0x3f1, v6
	v_or_b32_e32 v5, 0x1000, v3
	v_med3_i32 v8, v8, 0, 13
	v_lshrrev_b32_e32 v10, v8, v5
	v_lshlrev_b32_e32 v8, v8, v10
	v_cmp_ne_u32_e32 vcc, v8, v5
	v_fma_f16 v7, v40, v9, -v7
	v_cndmask_b32_e64 v5, 0, 1, vcc
	v_add_u32_e32 v8, 0xfffffc10, v6
	v_cvt_f32_f16_e32 v7, v7
	v_or_b32_e32 v5, v10, v5
	v_lshl_or_b32 v6, v8, 12, v3
	v_cmp_gt_i32_e32 vcc, 1, v8
	v_cndmask_b32_e32 v5, v6, v5, vcc
	v_and_b32_e32 v6, 7, v5
	v_cmp_lt_i32_e32 vcc, 5, v6
	v_cmp_eq_u32_e64 s[0:1], 3, v6
	v_lshrrev_b32_e32 v9, 2, v5
	v_cvt_f64_f32_e32 v[5:6], v7
	s_or_b64 vcc, s[0:1], vcc
	v_addc_co_u32_e32 v7, vcc, 0, v9, vcc
	v_mul_f64 v[5:6], v[5:6], s[2:3]
	v_cmp_gt_i32_e32 vcc, 31, v8
	v_cndmask_b32_e32 v7, v0, v7, vcc
	v_cmp_ne_u32_e32 vcc, 0, v3
	v_cndmask_b32_e64 v3, 0, 1, vcc
	v_lshl_or_b32 v3, v3, 9, v0
	v_cmp_eq_u32_e32 vcc, s10, v8
	v_cndmask_b32_e32 v3, v7, v3, vcc
	v_lshrrev_b32_e32 v4, 16, v4
	v_and_or_b32 v9, v4, s11, v3
	v_and_or_b32 v3, v6, s4, v5
	v_cmp_ne_u32_e32 vcc, 0, v3
	v_cndmask_b32_e64 v3, 0, 1, vcc
	v_lshrrev_b32_e32 v4, 8, v6
	v_and_or_b32 v5, v4, s5, v3
	v_bfe_u32 v4, v6, 20, 11
	v_sub_u32_e32 v7, 0x3f1, v4
	v_or_b32_e32 v3, 0x1000, v5
	v_med3_i32 v7, v7, 0, 13
	v_lshrrev_b32_e32 v8, v7, v3
	v_lshlrev_b32_e32 v7, v7, v8
	v_cmp_ne_u32_e32 vcc, v7, v3
	v_cndmask_b32_e64 v3, 0, 1, vcc
	v_add_u32_e32 v7, 0xfffffc10, v4
	v_or_b32_e32 v3, v8, v3
	v_lshl_or_b32 v4, v7, 12, v5
	v_cmp_gt_i32_e32 vcc, 1, v7
	v_cndmask_b32_e32 v3, v4, v3, vcc
	v_and_b32_e32 v4, 7, v3
	v_cmp_lt_i32_e32 vcc, 5, v4
	v_cmp_eq_u32_e64 s[0:1], 3, v4
	v_lshrrev_b32_e32 v3, 2, v3
	s_or_b64 vcc, s[0:1], vcc
	v_addc_co_u32_e32 v8, vcc, 0, v3, vcc
	v_add_u32_e32 v3, 0xb00, v34
	ds_read2_b32 v[3:4], v3 offset0:16 offset1:196
	v_cmp_gt_i32_e32 vcc, 31, v7
	v_cndmask_b32_e32 v8, v0, v8, vcc
	v_cmp_ne_u32_e32 vcc, 0, v5
	v_cndmask_b32_e64 v5, 0, 1, vcc
	s_waitcnt lgkmcnt(0)
	v_lshrrev_b32_e32 v10, 16, v3
	v_mul_f16_sdwa v11, v39, v10 dst_sel:DWORD dst_unused:UNUSED_PAD src0_sel:WORD_1 src1_sel:DWORD
	v_fma_f16 v11, v39, v3, v11
	v_cvt_f32_f16_e32 v11, v11
	v_lshl_or_b32 v5, v5, 9, v0
	v_cmp_eq_u32_e32 vcc, s10, v7
	v_cndmask_b32_e32 v5, v8, v5, vcc
	v_cvt_f64_f32_e32 v[7:8], v11
	v_lshrrev_b32_e32 v6, 16, v6
	v_and_or_b32 v11, v6, s11, v5
	v_add_co_u32_e32 v1, vcc, s7, v1
	v_mul_f64 v[5:6], v[7:8], s[2:3]
	v_mov_b32_e32 v8, s6
	v_and_b32_e32 v9, 0xffff, v9
	v_addc_co_u32_e32 v2, vcc, v2, v8, vcc
	v_lshl_or_b32 v7, v11, 16, v9
	global_store_dword v[1:2], v7, off
	v_mul_f16_sdwa v3, v39, v3 dst_sel:DWORD dst_unused:UNUSED_PAD src0_sel:WORD_1 src1_sel:DWORD
	v_and_or_b32 v5, v6, s4, v5
	v_cmp_ne_u32_e32 vcc, 0, v5
	v_cndmask_b32_e64 v5, 0, 1, vcc
	v_lshrrev_b32_e32 v7, 8, v6
	v_bfe_u32 v8, v6, 20, 11
	v_and_or_b32 v5, v7, s5, v5
	v_sub_u32_e32 v9, 0x3f1, v8
	v_or_b32_e32 v7, 0x1000, v5
	v_med3_i32 v9, v9, 0, 13
	v_lshrrev_b32_e32 v11, v9, v7
	v_lshlrev_b32_e32 v9, v9, v11
	v_cmp_ne_u32_e32 vcc, v9, v7
	v_fma_f16 v3, v39, v10, -v3
	v_cndmask_b32_e64 v7, 0, 1, vcc
	v_add_u32_e32 v9, 0xfffffc10, v8
	v_cvt_f32_f16_e32 v3, v3
	v_or_b32_e32 v7, v11, v7
	v_lshl_or_b32 v8, v9, 12, v5
	v_cmp_gt_i32_e32 vcc, 1, v9
	v_cndmask_b32_e32 v7, v8, v7, vcc
	v_and_b32_e32 v8, 7, v7
	v_cmp_lt_i32_e32 vcc, 5, v8
	v_cmp_eq_u32_e64 s[0:1], 3, v8
	v_lshrrev_b32_e32 v10, 2, v7
	v_cvt_f64_f32_e32 v[7:8], v3
	s_or_b64 vcc, s[0:1], vcc
	v_addc_co_u32_e32 v3, vcc, 0, v10, vcc
	v_mul_f64 v[7:8], v[7:8], s[2:3]
	v_cmp_gt_i32_e32 vcc, 31, v9
	v_cndmask_b32_e32 v3, v0, v3, vcc
	v_cmp_ne_u32_e32 vcc, 0, v5
	v_cndmask_b32_e64 v5, 0, 1, vcc
	v_lshl_or_b32 v5, v5, 9, v0
	v_cmp_eq_u32_e32 vcc, s10, v9
	v_cndmask_b32_e32 v3, v3, v5, vcc
	v_lshrrev_b32_e32 v5, 16, v6
	v_and_or_b32 v3, v5, s11, v3
	v_and_or_b32 v5, v8, s4, v7
	v_cmp_ne_u32_e32 vcc, 0, v5
	v_cndmask_b32_e64 v5, 0, 1, vcc
	v_lshrrev_b32_e32 v6, 8, v8
	v_bfe_u32 v7, v8, 20, 11
	v_and_or_b32 v5, v6, s5, v5
	v_sub_u32_e32 v9, 0x3f1, v7
	v_or_b32_e32 v6, 0x1000, v5
	v_med3_i32 v9, v9, 0, 13
	v_lshrrev_b32_e32 v10, v9, v6
	v_lshlrev_b32_e32 v9, v9, v10
	v_cmp_ne_u32_e32 vcc, v9, v6
	v_cndmask_b32_e64 v6, 0, 1, vcc
	v_add_u32_e32 v7, 0xfffffc10, v7
	v_or_b32_e32 v6, v10, v6
	v_lshl_or_b32 v9, v7, 12, v5
	v_cmp_gt_i32_e32 vcc, 1, v7
	v_cndmask_b32_e32 v6, v9, v6, vcc
	v_and_b32_e32 v9, 7, v6
	v_cmp_lt_i32_e32 vcc, 5, v9
	v_cmp_eq_u32_e64 s[0:1], 3, v9
	v_lshrrev_b32_e32 v9, 16, v4
	v_lshrrev_b32_e32 v6, 2, v6
	s_or_b64 vcc, s[0:1], vcc
	v_mul_f16_sdwa v10, v38, v9 dst_sel:DWORD dst_unused:UNUSED_PAD src0_sel:WORD_1 src1_sel:DWORD
	v_addc_co_u32_e32 v6, vcc, 0, v6, vcc
	v_fma_f16 v10, v38, v4, v10
	v_cmp_gt_i32_e32 vcc, 31, v7
	v_cvt_f32_f16_e32 v10, v10
	v_cndmask_b32_e32 v6, v0, v6, vcc
	v_cmp_ne_u32_e32 vcc, 0, v5
	v_cndmask_b32_e64 v5, 0, 1, vcc
	v_lshl_or_b32 v5, v5, 9, v0
	v_cmp_eq_u32_e32 vcc, s10, v7
	v_cndmask_b32_e32 v7, v6, v5, vcc
	v_cvt_f64_f32_e32 v[5:6], v10
	v_lshrrev_b32_e32 v8, 16, v8
	v_and_or_b32 v7, v8, s11, v7
	v_and_b32_e32 v3, 0xffff, v3
	v_mul_f64 v[5:6], v[5:6], s[2:3]
	v_lshl_or_b32 v3, v7, 16, v3
	v_mov_b32_e32 v7, s6
	v_add_co_u32_e32 v1, vcc, s7, v1
	v_addc_co_u32_e32 v2, vcc, v2, v7, vcc
	global_store_dword v[1:2], v3, off
	v_and_or_b32 v3, v6, s4, v5
	v_cmp_ne_u32_e32 vcc, 0, v3
	v_cndmask_b32_e64 v3, 0, 1, vcc
	v_lshrrev_b32_e32 v5, 8, v6
	v_bfe_u32 v7, v6, 20, 11
	v_and_or_b32 v5, v5, s5, v3
	v_sub_u32_e32 v8, 0x3f1, v7
	v_or_b32_e32 v3, 0x1000, v5
	v_med3_i32 v8, v8, 0, 13
	v_lshrrev_b32_e32 v10, v8, v3
	v_lshlrev_b32_e32 v8, v8, v10
	v_mul_f16_sdwa v4, v38, v4 dst_sel:DWORD dst_unused:UNUSED_PAD src0_sel:WORD_1 src1_sel:DWORD
	v_cmp_ne_u32_e32 vcc, v8, v3
	v_fma_f16 v4, v38, v9, -v4
	v_cndmask_b32_e64 v3, 0, 1, vcc
	v_add_u32_e32 v7, 0xfffffc10, v7
	v_cvt_f32_f16_e32 v4, v4
	v_or_b32_e32 v3, v10, v3
	v_lshl_or_b32 v8, v7, 12, v5
	v_cmp_gt_i32_e32 vcc, 1, v7
	v_cndmask_b32_e32 v3, v8, v3, vcc
	v_and_b32_e32 v8, 7, v3
	v_cmp_lt_i32_e32 vcc, 5, v8
	v_cmp_eq_u32_e64 s[0:1], 3, v8
	v_lshrrev_b32_e32 v8, 2, v3
	v_cvt_f64_f32_e32 v[3:4], v4
	s_or_b64 vcc, s[0:1], vcc
	v_addc_co_u32_e32 v8, vcc, 0, v8, vcc
	v_mul_f64 v[3:4], v[3:4], s[2:3]
	v_cmp_gt_i32_e32 vcc, 31, v7
	v_cndmask_b32_e32 v8, v0, v8, vcc
	v_cmp_ne_u32_e32 vcc, 0, v5
	v_cndmask_b32_e64 v5, 0, 1, vcc
	v_lshl_or_b32 v5, v5, 9, v0
	v_cmp_eq_u32_e32 vcc, s10, v7
	v_cndmask_b32_e32 v5, v8, v5, vcc
	v_and_or_b32 v3, v4, s4, v3
	v_lshrrev_b32_e32 v6, 16, v6
	v_cmp_ne_u32_e32 vcc, 0, v3
	v_and_or_b32 v9, v6, s11, v5
	v_cndmask_b32_e64 v3, 0, 1, vcc
	v_lshrrev_b32_e32 v5, 8, v4
	v_bfe_u32 v6, v4, 20, 11
	v_and_or_b32 v3, v5, s5, v3
	v_sub_u32_e32 v7, 0x3f1, v6
	v_or_b32_e32 v5, 0x1000, v3
	v_med3_i32 v7, v7, 0, 13
	v_lshrrev_b32_e32 v8, v7, v5
	v_lshlrev_b32_e32 v7, v7, v8
	v_cmp_ne_u32_e32 vcc, v7, v5
	v_cndmask_b32_e64 v5, 0, 1, vcc
	v_add_u32_e32 v7, 0xfffffc10, v6
	v_or_b32_e32 v5, v8, v5
	v_lshl_or_b32 v6, v7, 12, v3
	v_cmp_gt_i32_e32 vcc, 1, v7
	v_cndmask_b32_e32 v5, v6, v5, vcc
	v_and_b32_e32 v6, 7, v5
	v_cmp_lt_i32_e32 vcc, 5, v6
	v_cmp_eq_u32_e64 s[0:1], 3, v6
	v_lshrrev_b32_e32 v5, 2, v5
	s_or_b64 vcc, s[0:1], vcc
	v_addc_co_u32_e32 v8, vcc, 0, v5, vcc
	v_add_u32_e32 v5, 0x1000, v34
	ds_read2_b32 v[5:6], v5 offset0:56 offset1:236
	v_cmp_gt_i32_e32 vcc, 31, v7
	v_cndmask_b32_e32 v8, v0, v8, vcc
	v_cmp_ne_u32_e32 vcc, 0, v3
	v_cndmask_b32_e64 v3, 0, 1, vcc
	s_waitcnt lgkmcnt(0)
	v_lshrrev_b32_e32 v10, 16, v5
	v_mul_f16_sdwa v11, v37, v10 dst_sel:DWORD dst_unused:UNUSED_PAD src0_sel:WORD_1 src1_sel:DWORD
	v_fma_f16 v11, v37, v5, v11
	v_cvt_f32_f16_e32 v11, v11
	v_lshl_or_b32 v3, v3, 9, v0
	v_cmp_eq_u32_e32 vcc, s10, v7
	v_cndmask_b32_e32 v3, v8, v3, vcc
	v_cvt_f64_f32_e32 v[7:8], v11
	v_lshrrev_b32_e32 v4, 16, v4
	v_and_or_b32 v11, v4, s11, v3
	v_add_co_u32_e32 v1, vcc, s7, v1
	v_mul_f64 v[3:4], v[7:8], s[2:3]
	v_mov_b32_e32 v8, s6
	v_and_b32_e32 v9, 0xffff, v9
	v_addc_co_u32_e32 v2, vcc, v2, v8, vcc
	v_lshl_or_b32 v7, v11, 16, v9
	global_store_dword v[1:2], v7, off
	v_mul_f16_sdwa v5, v37, v5 dst_sel:DWORD dst_unused:UNUSED_PAD src0_sel:WORD_1 src1_sel:DWORD
	v_and_or_b32 v3, v4, s4, v3
	v_cmp_ne_u32_e32 vcc, 0, v3
	v_cndmask_b32_e64 v3, 0, 1, vcc
	v_lshrrev_b32_e32 v7, 8, v4
	v_bfe_u32 v8, v4, 20, 11
	v_and_or_b32 v3, v7, s5, v3
	v_sub_u32_e32 v9, 0x3f1, v8
	v_or_b32_e32 v7, 0x1000, v3
	v_med3_i32 v9, v9, 0, 13
	v_lshrrev_b32_e32 v11, v9, v7
	v_lshlrev_b32_e32 v9, v9, v11
	v_cmp_ne_u32_e32 vcc, v9, v7
	v_fma_f16 v5, v37, v10, -v5
	v_cndmask_b32_e64 v7, 0, 1, vcc
	v_add_u32_e32 v9, 0xfffffc10, v8
	v_cvt_f32_f16_e32 v5, v5
	v_or_b32_e32 v7, v11, v7
	v_lshl_or_b32 v8, v9, 12, v3
	v_cmp_gt_i32_e32 vcc, 1, v9
	v_cndmask_b32_e32 v7, v8, v7, vcc
	v_and_b32_e32 v8, 7, v7
	v_cmp_lt_i32_e32 vcc, 5, v8
	v_cmp_eq_u32_e64 s[0:1], 3, v8
	v_lshrrev_b32_e32 v10, 2, v7
	v_cvt_f64_f32_e32 v[7:8], v5
	s_or_b64 vcc, s[0:1], vcc
	v_addc_co_u32_e32 v5, vcc, 0, v10, vcc
	v_mul_f64 v[7:8], v[7:8], s[2:3]
	v_cmp_gt_i32_e32 vcc, 31, v9
	v_cndmask_b32_e32 v5, v0, v5, vcc
	v_cmp_ne_u32_e32 vcc, 0, v3
	v_cndmask_b32_e64 v3, 0, 1, vcc
	v_lshl_or_b32 v3, v3, 9, v0
	v_cmp_eq_u32_e32 vcc, s10, v9
	v_cndmask_b32_e32 v3, v5, v3, vcc
	v_lshrrev_b32_e32 v4, 16, v4
	v_and_or_b32 v5, v4, s11, v3
	v_and_or_b32 v3, v8, s4, v7
	v_cmp_ne_u32_e32 vcc, 0, v3
	v_cndmask_b32_e64 v3, 0, 1, vcc
	v_lshrrev_b32_e32 v4, 8, v8
	v_bfe_u32 v7, v8, 20, 11
	v_and_or_b32 v3, v4, s5, v3
	v_sub_u32_e32 v9, 0x3f1, v7
	v_or_b32_e32 v4, 0x1000, v3
	v_med3_i32 v9, v9, 0, 13
	v_lshrrev_b32_e32 v10, v9, v4
	v_lshlrev_b32_e32 v9, v9, v10
	v_cmp_ne_u32_e32 vcc, v9, v4
	v_cndmask_b32_e64 v4, 0, 1, vcc
	v_add_u32_e32 v7, 0xfffffc10, v7
	v_or_b32_e32 v4, v10, v4
	v_lshl_or_b32 v9, v7, 12, v3
	v_cmp_gt_i32_e32 vcc, 1, v7
	v_cndmask_b32_e32 v4, v9, v4, vcc
	v_and_b32_e32 v9, 7, v4
	v_cmp_lt_i32_e32 vcc, 5, v9
	v_cmp_eq_u32_e64 s[0:1], 3, v9
	v_lshrrev_b32_e32 v9, 16, v6
	v_lshrrev_b32_e32 v4, 2, v4
	s_or_b64 vcc, s[0:1], vcc
	v_mul_f16_sdwa v10, v36, v9 dst_sel:DWORD dst_unused:UNUSED_PAD src0_sel:WORD_1 src1_sel:DWORD
	v_addc_co_u32_e32 v4, vcc, 0, v4, vcc
	v_fma_f16 v10, v36, v6, v10
	v_cmp_gt_i32_e32 vcc, 31, v7
	v_cvt_f32_f16_e32 v10, v10
	v_cndmask_b32_e32 v4, v0, v4, vcc
	v_cmp_ne_u32_e32 vcc, 0, v3
	v_cndmask_b32_e64 v3, 0, 1, vcc
	v_lshl_or_b32 v3, v3, 9, v0
	v_cmp_eq_u32_e32 vcc, s10, v7
	v_cndmask_b32_e32 v7, v4, v3, vcc
	v_cvt_f64_f32_e32 v[3:4], v10
	v_lshrrev_b32_e32 v8, 16, v8
	v_and_or_b32 v7, v8, s11, v7
	v_and_b32_e32 v5, 0xffff, v5
	v_mul_f64 v[3:4], v[3:4], s[2:3]
	v_lshl_or_b32 v5, v7, 16, v5
	v_mov_b32_e32 v7, s6
	v_add_co_u32_e32 v1, vcc, s7, v1
	v_addc_co_u32_e32 v2, vcc, v2, v7, vcc
	global_store_dword v[1:2], v5, off
	v_and_or_b32 v3, v4, s4, v3
	v_cmp_ne_u32_e32 vcc, 0, v3
	v_cndmask_b32_e64 v3, 0, 1, vcc
	v_lshrrev_b32_e32 v5, 8, v4
	v_bfe_u32 v7, v4, 20, 11
	v_and_or_b32 v3, v5, s5, v3
	v_sub_u32_e32 v8, 0x3f1, v7
	v_or_b32_e32 v5, 0x1000, v3
	v_med3_i32 v8, v8, 0, 13
	v_lshrrev_b32_e32 v10, v8, v5
	v_lshlrev_b32_e32 v8, v8, v10
	v_mul_f16_sdwa v6, v36, v6 dst_sel:DWORD dst_unused:UNUSED_PAD src0_sel:WORD_1 src1_sel:DWORD
	v_cmp_ne_u32_e32 vcc, v8, v5
	v_fma_f16 v6, v36, v9, -v6
	v_cndmask_b32_e64 v5, 0, 1, vcc
	v_add_u32_e32 v7, 0xfffffc10, v7
	v_cvt_f32_f16_e32 v6, v6
	v_or_b32_e32 v5, v10, v5
	v_lshl_or_b32 v8, v7, 12, v3
	v_cmp_gt_i32_e32 vcc, 1, v7
	v_cndmask_b32_e32 v5, v8, v5, vcc
	v_and_b32_e32 v8, 7, v5
	v_cmp_lt_i32_e32 vcc, 5, v8
	v_cmp_eq_u32_e64 s[0:1], 3, v8
	v_lshrrev_b32_e32 v8, 2, v5
	v_cvt_f64_f32_e32 v[5:6], v6
	s_or_b64 vcc, s[0:1], vcc
	v_addc_co_u32_e32 v8, vcc, 0, v8, vcc
	v_mul_f64 v[5:6], v[5:6], s[2:3]
	v_cmp_gt_i32_e32 vcc, 31, v7
	v_cndmask_b32_e32 v8, v0, v8, vcc
	v_cmp_ne_u32_e32 vcc, 0, v3
	v_cndmask_b32_e64 v3, 0, 1, vcc
	v_lshl_or_b32 v3, v3, 9, v0
	v_cmp_eq_u32_e32 vcc, s10, v7
	v_cndmask_b32_e32 v3, v8, v3, vcc
	v_lshrrev_b32_e32 v4, 16, v4
	v_and_or_b32 v9, v4, s11, v3
	v_and_or_b32 v3, v6, s4, v5
	v_cmp_ne_u32_e32 vcc, 0, v3
	v_cndmask_b32_e64 v3, 0, 1, vcc
	v_lshrrev_b32_e32 v4, 8, v6
	v_and_or_b32 v5, v4, s5, v3
	v_bfe_u32 v4, v6, 20, 11
	v_sub_u32_e32 v7, 0x3f1, v4
	v_or_b32_e32 v3, 0x1000, v5
	v_med3_i32 v7, v7, 0, 13
	v_lshrrev_b32_e32 v8, v7, v3
	v_lshlrev_b32_e32 v7, v7, v8
	v_cmp_ne_u32_e32 vcc, v7, v3
	v_cndmask_b32_e64 v3, 0, 1, vcc
	v_add_u32_e32 v7, 0xfffffc10, v4
	v_or_b32_e32 v3, v8, v3
	v_lshl_or_b32 v4, v7, 12, v5
	v_cmp_gt_i32_e32 vcc, 1, v7
	v_cndmask_b32_e32 v3, v4, v3, vcc
	v_and_b32_e32 v4, 7, v3
	v_cmp_lt_i32_e32 vcc, 5, v4
	v_cmp_eq_u32_e64 s[0:1], 3, v4
	v_lshrrev_b32_e32 v3, 2, v3
	s_or_b64 vcc, s[0:1], vcc
	v_addc_co_u32_e32 v8, vcc, 0, v3, vcc
	v_add_u32_e32 v3, 0x1600, v34
	ds_read2_b32 v[3:4], v3 offset0:32 offset1:212
	v_cmp_gt_i32_e32 vcc, 31, v7
	v_cndmask_b32_e32 v8, v0, v8, vcc
	v_cmp_ne_u32_e32 vcc, 0, v5
	v_cndmask_b32_e64 v5, 0, 1, vcc
	s_waitcnt lgkmcnt(0)
	v_lshrrev_b32_e32 v10, 16, v3
	v_mul_f16_sdwa v11, v35, v10 dst_sel:DWORD dst_unused:UNUSED_PAD src0_sel:WORD_1 src1_sel:DWORD
	v_fma_f16 v11, v35, v3, v11
	v_cvt_f32_f16_e32 v11, v11
	v_lshl_or_b32 v5, v5, 9, v0
	v_cmp_eq_u32_e32 vcc, s10, v7
	v_cndmask_b32_e32 v5, v8, v5, vcc
	v_cvt_f64_f32_e32 v[7:8], v11
	v_lshrrev_b32_e32 v6, 16, v6
	v_and_or_b32 v11, v6, s11, v5
	v_add_co_u32_e32 v1, vcc, s7, v1
	v_mul_f64 v[5:6], v[7:8], s[2:3]
	v_mov_b32_e32 v8, s6
	v_and_b32_e32 v9, 0xffff, v9
	v_addc_co_u32_e32 v2, vcc, v2, v8, vcc
	v_lshl_or_b32 v7, v11, 16, v9
	global_store_dword v[1:2], v7, off
	v_mul_f16_sdwa v3, v35, v3 dst_sel:DWORD dst_unused:UNUSED_PAD src0_sel:WORD_1 src1_sel:DWORD
	v_and_or_b32 v5, v6, s4, v5
	v_cmp_ne_u32_e32 vcc, 0, v5
	v_cndmask_b32_e64 v5, 0, 1, vcc
	v_lshrrev_b32_e32 v7, 8, v6
	v_bfe_u32 v8, v6, 20, 11
	v_and_or_b32 v5, v7, s5, v5
	v_sub_u32_e32 v9, 0x3f1, v8
	v_or_b32_e32 v7, 0x1000, v5
	v_med3_i32 v9, v9, 0, 13
	v_lshrrev_b32_e32 v11, v9, v7
	v_lshlrev_b32_e32 v9, v9, v11
	v_cmp_ne_u32_e32 vcc, v9, v7
	v_fma_f16 v3, v35, v10, -v3
	v_cndmask_b32_e64 v7, 0, 1, vcc
	v_add_u32_e32 v9, 0xfffffc10, v8
	v_cvt_f32_f16_e32 v3, v3
	v_or_b32_e32 v7, v11, v7
	v_lshl_or_b32 v8, v9, 12, v5
	v_cmp_gt_i32_e32 vcc, 1, v9
	v_cndmask_b32_e32 v7, v8, v7, vcc
	v_and_b32_e32 v8, 7, v7
	v_cmp_lt_i32_e32 vcc, 5, v8
	v_cmp_eq_u32_e64 s[0:1], 3, v8
	v_lshrrev_b32_e32 v10, 2, v7
	v_cvt_f64_f32_e32 v[7:8], v3
	s_or_b64 vcc, s[0:1], vcc
	v_addc_co_u32_e32 v3, vcc, 0, v10, vcc
	v_mul_f64 v[7:8], v[7:8], s[2:3]
	v_cmp_gt_i32_e32 vcc, 31, v9
	v_cndmask_b32_e32 v3, v0, v3, vcc
	v_cmp_ne_u32_e32 vcc, 0, v5
	v_cndmask_b32_e64 v5, 0, 1, vcc
	v_lshl_or_b32 v5, v5, 9, v0
	v_cmp_eq_u32_e32 vcc, s10, v9
	v_cndmask_b32_e32 v3, v3, v5, vcc
	v_lshrrev_b32_e32 v5, 16, v6
	v_and_or_b32 v3, v5, s11, v3
	v_and_or_b32 v5, v8, s4, v7
	v_cmp_ne_u32_e32 vcc, 0, v5
	v_cndmask_b32_e64 v5, 0, 1, vcc
	v_lshrrev_b32_e32 v6, 8, v8
	v_bfe_u32 v7, v8, 20, 11
	v_and_or_b32 v5, v6, s5, v5
	v_sub_u32_e32 v9, 0x3f1, v7
	v_or_b32_e32 v6, 0x1000, v5
	v_med3_i32 v9, v9, 0, 13
	v_lshrrev_b32_e32 v10, v9, v6
	v_lshlrev_b32_e32 v9, v9, v10
	v_cmp_ne_u32_e32 vcc, v9, v6
	v_cndmask_b32_e64 v6, 0, 1, vcc
	v_add_u32_e32 v7, 0xfffffc10, v7
	v_or_b32_e32 v6, v10, v6
	v_lshl_or_b32 v9, v7, 12, v5
	v_cmp_gt_i32_e32 vcc, 1, v7
	v_cndmask_b32_e32 v6, v9, v6, vcc
	v_and_b32_e32 v9, 7, v6
	v_cmp_lt_i32_e32 vcc, 5, v9
	v_cmp_eq_u32_e64 s[0:1], 3, v9
	v_lshrrev_b32_e32 v9, 16, v4
	v_lshrrev_b32_e32 v6, 2, v6
	s_or_b64 vcc, s[0:1], vcc
	v_mul_f16_sdwa v10, v33, v9 dst_sel:DWORD dst_unused:UNUSED_PAD src0_sel:WORD_1 src1_sel:DWORD
	v_addc_co_u32_e32 v6, vcc, 0, v6, vcc
	v_fma_f16 v10, v33, v4, v10
	v_cmp_gt_i32_e32 vcc, 31, v7
	v_cvt_f32_f16_e32 v10, v10
	v_cndmask_b32_e32 v6, v0, v6, vcc
	v_cmp_ne_u32_e32 vcc, 0, v5
	v_cndmask_b32_e64 v5, 0, 1, vcc
	v_lshl_or_b32 v5, v5, 9, v0
	v_cmp_eq_u32_e32 vcc, s10, v7
	v_cndmask_b32_e32 v7, v6, v5, vcc
	v_cvt_f64_f32_e32 v[5:6], v10
	v_lshrrev_b32_e32 v8, 16, v8
	v_and_or_b32 v7, v8, s11, v7
	v_and_b32_e32 v3, 0xffff, v3
	v_mul_f64 v[5:6], v[5:6], s[2:3]
	v_lshl_or_b32 v3, v7, 16, v3
	v_mov_b32_e32 v7, s6
	v_add_co_u32_e32 v1, vcc, s7, v1
	v_addc_co_u32_e32 v2, vcc, v2, v7, vcc
	global_store_dword v[1:2], v3, off
	v_and_or_b32 v3, v6, s4, v5
	v_cmp_ne_u32_e32 vcc, 0, v3
	v_cndmask_b32_e64 v3, 0, 1, vcc
	v_lshrrev_b32_e32 v5, 8, v6
	v_bfe_u32 v7, v6, 20, 11
	v_and_or_b32 v5, v5, s5, v3
	v_sub_u32_e32 v8, 0x3f1, v7
	v_or_b32_e32 v3, 0x1000, v5
	v_med3_i32 v8, v8, 0, 13
	v_lshrrev_b32_e32 v10, v8, v3
	v_lshlrev_b32_e32 v8, v8, v10
	v_mul_f16_sdwa v4, v33, v4 dst_sel:DWORD dst_unused:UNUSED_PAD src0_sel:WORD_1 src1_sel:DWORD
	v_cmp_ne_u32_e32 vcc, v8, v3
	v_fma_f16 v4, v33, v9, -v4
	v_cndmask_b32_e64 v3, 0, 1, vcc
	v_add_u32_e32 v7, 0xfffffc10, v7
	v_cvt_f32_f16_e32 v4, v4
	v_or_b32_e32 v3, v10, v3
	v_lshl_or_b32 v8, v7, 12, v5
	v_cmp_gt_i32_e32 vcc, 1, v7
	v_cndmask_b32_e32 v3, v8, v3, vcc
	v_and_b32_e32 v8, 7, v3
	v_cmp_lt_i32_e32 vcc, 5, v8
	v_cmp_eq_u32_e64 s[0:1], 3, v8
	v_lshrrev_b32_e32 v8, 2, v3
	v_cvt_f64_f32_e32 v[3:4], v4
	s_or_b64 vcc, s[0:1], vcc
	v_addc_co_u32_e32 v8, vcc, 0, v8, vcc
	v_mul_f64 v[3:4], v[3:4], s[2:3]
	v_cmp_gt_i32_e32 vcc, 31, v7
	v_cndmask_b32_e32 v8, v0, v8, vcc
	v_cmp_ne_u32_e32 vcc, 0, v5
	v_cndmask_b32_e64 v5, 0, 1, vcc
	v_lshl_or_b32 v5, v5, 9, v0
	v_cmp_eq_u32_e32 vcc, s10, v7
	v_cndmask_b32_e32 v5, v8, v5, vcc
	v_and_or_b32 v3, v4, s4, v3
	v_lshrrev_b32_e32 v6, 16, v6
	v_cmp_ne_u32_e32 vcc, 0, v3
	v_and_or_b32 v5, v6, s11, v5
	v_cndmask_b32_e64 v3, 0, 1, vcc
	v_lshrrev_b32_e32 v6, 8, v4
	v_bfe_u32 v7, v4, 20, 11
	v_and_or_b32 v3, v6, s5, v3
	v_sub_u32_e32 v8, 0x3f1, v7
	v_or_b32_e32 v6, 0x1000, v3
	v_med3_i32 v8, v8, 0, 13
	v_lshrrev_b32_e32 v9, v8, v6
	v_lshlrev_b32_e32 v8, v8, v9
	v_cmp_ne_u32_e32 vcc, v8, v6
	v_cndmask_b32_e64 v6, 0, 1, vcc
	v_add_u32_e32 v7, 0xfffffc10, v7
	v_or_b32_e32 v6, v9, v6
	v_lshl_or_b32 v8, v7, 12, v3
	v_cmp_gt_i32_e32 vcc, 1, v7
	v_cndmask_b32_e32 v6, v8, v6, vcc
	v_and_b32_e32 v8, 7, v6
	v_cmp_lt_i32_e32 vcc, 5, v8
	v_cmp_eq_u32_e64 s[0:1], 3, v8
	v_lshrrev_b32_e32 v6, 2, v6
	s_or_b64 vcc, s[0:1], vcc
	v_addc_co_u32_e32 v6, vcc, 0, v6, vcc
	v_cmp_gt_i32_e32 vcc, 31, v7
	v_cndmask_b32_e32 v6, v0, v6, vcc
	v_cmp_ne_u32_e32 vcc, 0, v3
	v_cndmask_b32_e64 v3, 0, 1, vcc
	v_lshl_or_b32 v0, v3, 9, v0
	v_cmp_eq_u32_e32 vcc, s10, v7
	v_cndmask_b32_e32 v0, v6, v0, vcc
	v_lshrrev_b32_e32 v3, 16, v4
	v_and_or_b32 v0, v3, s11, v0
	v_and_b32_e32 v3, 0xffff, v5
	v_lshl_or_b32 v3, v0, 16, v3
	v_mov_b32_e32 v4, s6
	v_add_co_u32_e32 v0, vcc, s7, v1
	v_addc_co_u32_e32 v1, vcc, v2, v4, vcc
	global_store_dword v[0:1], v3, off
.LBB0_18:
	s_endpgm
	.section	.rodata,"a",@progbits
	.p2align	6, 0x0
	.amdhsa_kernel bluestein_single_fwd_len1800_dim1_half_op_CI_CI
		.amdhsa_group_segment_fixed_size 7200
		.amdhsa_private_segment_fixed_size 0
		.amdhsa_kernarg_size 104
		.amdhsa_user_sgpr_count 6
		.amdhsa_user_sgpr_private_segment_buffer 1
		.amdhsa_user_sgpr_dispatch_ptr 0
		.amdhsa_user_sgpr_queue_ptr 0
		.amdhsa_user_sgpr_kernarg_segment_ptr 1
		.amdhsa_user_sgpr_dispatch_id 0
		.amdhsa_user_sgpr_flat_scratch_init 0
		.amdhsa_user_sgpr_private_segment_size 0
		.amdhsa_uses_dynamic_stack 0
		.amdhsa_system_sgpr_private_segment_wavefront_offset 0
		.amdhsa_system_sgpr_workgroup_id_x 1
		.amdhsa_system_sgpr_workgroup_id_y 0
		.amdhsa_system_sgpr_workgroup_id_z 0
		.amdhsa_system_sgpr_workgroup_info 0
		.amdhsa_system_vgpr_workitem_id 0
		.amdhsa_next_free_vgpr 81
		.amdhsa_next_free_sgpr 20
		.amdhsa_reserve_vcc 1
		.amdhsa_reserve_flat_scratch 0
		.amdhsa_float_round_mode_32 0
		.amdhsa_float_round_mode_16_64 0
		.amdhsa_float_denorm_mode_32 3
		.amdhsa_float_denorm_mode_16_64 3
		.amdhsa_dx10_clamp 1
		.amdhsa_ieee_mode 1
		.amdhsa_fp16_overflow 0
		.amdhsa_exception_fp_ieee_invalid_op 0
		.amdhsa_exception_fp_denorm_src 0
		.amdhsa_exception_fp_ieee_div_zero 0
		.amdhsa_exception_fp_ieee_overflow 0
		.amdhsa_exception_fp_ieee_underflow 0
		.amdhsa_exception_fp_ieee_inexact 0
		.amdhsa_exception_int_div_zero 0
	.end_amdhsa_kernel
	.text
.Lfunc_end0:
	.size	bluestein_single_fwd_len1800_dim1_half_op_CI_CI, .Lfunc_end0-bluestein_single_fwd_len1800_dim1_half_op_CI_CI
                                        ; -- End function
	.section	.AMDGPU.csdata,"",@progbits
; Kernel info:
; codeLenInByte = 16916
; NumSgprs: 24
; NumVgprs: 81
; ScratchSize: 0
; MemoryBound: 0
; FloatMode: 240
; IeeeMode: 1
; LDSByteSize: 7200 bytes/workgroup (compile time only)
; SGPRBlocks: 2
; VGPRBlocks: 20
; NumSGPRsForWavesPerEU: 24
; NumVGPRsForWavesPerEU: 81
; Occupancy: 3
; WaveLimiterHint : 1
; COMPUTE_PGM_RSRC2:SCRATCH_EN: 0
; COMPUTE_PGM_RSRC2:USER_SGPR: 6
; COMPUTE_PGM_RSRC2:TRAP_HANDLER: 0
; COMPUTE_PGM_RSRC2:TGID_X_EN: 1
; COMPUTE_PGM_RSRC2:TGID_Y_EN: 0
; COMPUTE_PGM_RSRC2:TGID_Z_EN: 0
; COMPUTE_PGM_RSRC2:TIDIG_COMP_CNT: 0
	.type	__hip_cuid_b01ece8cae0359bc,@object ; @__hip_cuid_b01ece8cae0359bc
	.section	.bss,"aw",@nobits
	.globl	__hip_cuid_b01ece8cae0359bc
__hip_cuid_b01ece8cae0359bc:
	.byte	0                               ; 0x0
	.size	__hip_cuid_b01ece8cae0359bc, 1

	.ident	"AMD clang version 19.0.0git (https://github.com/RadeonOpenCompute/llvm-project roc-6.4.0 25133 c7fe45cf4b819c5991fe208aaa96edf142730f1d)"
	.section	".note.GNU-stack","",@progbits
	.addrsig
	.addrsig_sym __hip_cuid_b01ece8cae0359bc
	.amdgpu_metadata
---
amdhsa.kernels:
  - .args:
      - .actual_access:  read_only
        .address_space:  global
        .offset:         0
        .size:           8
        .value_kind:     global_buffer
      - .actual_access:  read_only
        .address_space:  global
        .offset:         8
        .size:           8
        .value_kind:     global_buffer
      - .actual_access:  read_only
        .address_space:  global
        .offset:         16
        .size:           8
        .value_kind:     global_buffer
      - .actual_access:  read_only
        .address_space:  global
        .offset:         24
        .size:           8
        .value_kind:     global_buffer
      - .actual_access:  read_only
        .address_space:  global
        .offset:         32
        .size:           8
        .value_kind:     global_buffer
      - .offset:         40
        .size:           8
        .value_kind:     by_value
      - .address_space:  global
        .offset:         48
        .size:           8
        .value_kind:     global_buffer
      - .address_space:  global
        .offset:         56
        .size:           8
        .value_kind:     global_buffer
      - .address_space:  global
        .offset:         64
        .size:           8
        .value_kind:     global_buffer
      - .address_space:  global
        .offset:         72
        .size:           8
        .value_kind:     global_buffer
      - .offset:         80
        .size:           4
        .value_kind:     by_value
      - .address_space:  global
        .offset:         88
        .size:           8
        .value_kind:     global_buffer
      - .address_space:  global
        .offset:         96
        .size:           8
        .value_kind:     global_buffer
    .group_segment_fixed_size: 7200
    .kernarg_segment_align: 8
    .kernarg_segment_size: 104
    .language:       OpenCL C
    .language_version:
      - 2
      - 0
    .max_flat_workgroup_size: 180
    .name:           bluestein_single_fwd_len1800_dim1_half_op_CI_CI
    .private_segment_fixed_size: 0
    .sgpr_count:     24
    .sgpr_spill_count: 0
    .symbol:         bluestein_single_fwd_len1800_dim1_half_op_CI_CI.kd
    .uniform_work_group_size: 1
    .uses_dynamic_stack: false
    .vgpr_count:     81
    .vgpr_spill_count: 0
    .wavefront_size: 64
amdhsa.target:   amdgcn-amd-amdhsa--gfx906
amdhsa.version:
  - 1
  - 2
...

	.end_amdgpu_metadata
